;; amdgpu-corpus repo=ROCm/rocFFT kind=compiled arch=gfx906 opt=O3
	.text
	.amdgcn_target "amdgcn-amd-amdhsa--gfx906"
	.amdhsa_code_object_version 6
	.protected	fft_rtc_fwd_len1020_factors_2_17_2_3_5_wgs_204_tpt_68_halfLds_sp_op_CI_CI_unitstride_sbrr_C2R_dirReg ; -- Begin function fft_rtc_fwd_len1020_factors_2_17_2_3_5_wgs_204_tpt_68_halfLds_sp_op_CI_CI_unitstride_sbrr_C2R_dirReg
	.globl	fft_rtc_fwd_len1020_factors_2_17_2_3_5_wgs_204_tpt_68_halfLds_sp_op_CI_CI_unitstride_sbrr_C2R_dirReg
	.p2align	8
	.type	fft_rtc_fwd_len1020_factors_2_17_2_3_5_wgs_204_tpt_68_halfLds_sp_op_CI_CI_unitstride_sbrr_C2R_dirReg,@function
fft_rtc_fwd_len1020_factors_2_17_2_3_5_wgs_204_tpt_68_halfLds_sp_op_CI_CI_unitstride_sbrr_C2R_dirReg: ; @fft_rtc_fwd_len1020_factors_2_17_2_3_5_wgs_204_tpt_68_halfLds_sp_op_CI_CI_unitstride_sbrr_C2R_dirReg
; %bb.0:
	s_load_dwordx4 s[8:11], s[4:5], 0x58
	s_load_dwordx4 s[12:15], s[4:5], 0x0
	;; [unrolled: 1-line block ×3, first 2 shown]
	v_mul_u32_u24_e32 v1, 0x3c4, v0
	v_lshrrev_b32_e32 v1, 16, v1
	v_mad_u64_u32 v[3:4], s[0:1], s6, 3, v[1:2]
	v_mov_b32_e32 v5, 0
	v_mov_b32_e32 v1, 0
	;; [unrolled: 1-line block ×3, first 2 shown]
	s_waitcnt lgkmcnt(0)
	v_cmp_lt_u64_e64 s[0:1], s[14:15], 2
	v_mov_b32_e32 v2, 0
	v_mov_b32_e32 v25, v2
	;; [unrolled: 1-line block ×3, first 2 shown]
	s_and_b64 vcc, exec, s[0:1]
	v_mov_b32_e32 v24, v1
	v_mov_b32_e32 v26, v3
	s_cbranch_vccnz .LBB0_8
; %bb.1:
	s_load_dwordx2 s[0:1], s[4:5], 0x10
	s_add_u32 s2, s18, 8
	s_addc_u32 s3, s19, 0
	s_add_u32 s6, s16, 8
	v_mov_b32_e32 v1, 0
	s_addc_u32 s7, s17, 0
	v_mov_b32_e32 v2, 0
	s_waitcnt lgkmcnt(0)
	s_add_u32 s20, s0, 8
	v_mov_b32_e32 v25, v2
	v_mov_b32_e32 v8, v4
	s_addc_u32 s21, s1, 0
	s_mov_b64 s[22:23], 1
	v_mov_b32_e32 v24, v1
	v_mov_b32_e32 v7, v3
.LBB0_2:                                ; =>This Inner Loop Header: Depth=1
	s_load_dwordx2 s[24:25], s[20:21], 0x0
                                        ; implicit-def: $vgpr26_vgpr27
	s_waitcnt lgkmcnt(0)
	v_or_b32_e32 v6, s25, v8
	v_cmp_ne_u64_e32 vcc, 0, v[5:6]
	s_and_saveexec_b64 s[0:1], vcc
	s_xor_b64 s[26:27], exec, s[0:1]
	s_cbranch_execz .LBB0_4
; %bb.3:                                ;   in Loop: Header=BB0_2 Depth=1
	v_cvt_f32_u32_e32 v4, s24
	v_cvt_f32_u32_e32 v6, s25
	s_sub_u32 s0, 0, s24
	s_subb_u32 s1, 0, s25
	v_mac_f32_e32 v4, 0x4f800000, v6
	v_rcp_f32_e32 v4, v4
	v_mul_f32_e32 v4, 0x5f7ffffc, v4
	v_mul_f32_e32 v6, 0x2f800000, v4
	v_trunc_f32_e32 v6, v6
	v_mac_f32_e32 v4, 0xcf800000, v6
	v_cvt_u32_f32_e32 v6, v6
	v_cvt_u32_f32_e32 v4, v4
	v_mul_lo_u32 v9, s0, v6
	v_mul_hi_u32 v10, s0, v4
	v_mul_lo_u32 v12, s1, v4
	v_mul_lo_u32 v11, s0, v4
	v_add_u32_e32 v9, v10, v9
	v_add_u32_e32 v9, v9, v12
	v_mul_hi_u32 v10, v4, v11
	v_mul_lo_u32 v12, v4, v9
	v_mul_hi_u32 v14, v4, v9
	v_mul_hi_u32 v13, v6, v11
	v_mul_lo_u32 v11, v6, v11
	v_mul_hi_u32 v15, v6, v9
	v_add_co_u32_e32 v10, vcc, v10, v12
	v_addc_co_u32_e32 v12, vcc, 0, v14, vcc
	v_mul_lo_u32 v9, v6, v9
	v_add_co_u32_e32 v10, vcc, v10, v11
	v_addc_co_u32_e32 v10, vcc, v12, v13, vcc
	v_addc_co_u32_e32 v11, vcc, 0, v15, vcc
	v_add_co_u32_e32 v9, vcc, v10, v9
	v_addc_co_u32_e32 v10, vcc, 0, v11, vcc
	v_add_co_u32_e32 v4, vcc, v4, v9
	v_addc_co_u32_e32 v6, vcc, v6, v10, vcc
	v_mul_lo_u32 v9, s0, v6
	v_mul_hi_u32 v10, s0, v4
	v_mul_lo_u32 v11, s1, v4
	v_mul_lo_u32 v12, s0, v4
	v_add_u32_e32 v9, v10, v9
	v_add_u32_e32 v9, v9, v11
	v_mul_lo_u32 v13, v4, v9
	v_mul_hi_u32 v14, v4, v12
	v_mul_hi_u32 v15, v4, v9
	;; [unrolled: 1-line block ×3, first 2 shown]
	v_mul_lo_u32 v12, v6, v12
	v_mul_hi_u32 v10, v6, v9
	v_add_co_u32_e32 v13, vcc, v14, v13
	v_addc_co_u32_e32 v14, vcc, 0, v15, vcc
	v_mul_lo_u32 v9, v6, v9
	v_add_co_u32_e32 v12, vcc, v13, v12
	v_addc_co_u32_e32 v11, vcc, v14, v11, vcc
	v_addc_co_u32_e32 v10, vcc, 0, v10, vcc
	v_add_co_u32_e32 v9, vcc, v11, v9
	v_addc_co_u32_e32 v10, vcc, 0, v10, vcc
	v_add_co_u32_e32 v4, vcc, v4, v9
	v_addc_co_u32_e32 v6, vcc, v6, v10, vcc
	v_mad_u64_u32 v[9:10], s[0:1], v7, v6, 0
	v_mul_hi_u32 v11, v7, v4
	v_add_co_u32_e32 v13, vcc, v11, v9
	v_addc_co_u32_e32 v14, vcc, 0, v10, vcc
	v_mad_u64_u32 v[9:10], s[0:1], v8, v4, 0
	v_mad_u64_u32 v[11:12], s[0:1], v8, v6, 0
	v_add_co_u32_e32 v4, vcc, v13, v9
	v_addc_co_u32_e32 v4, vcc, v14, v10, vcc
	v_addc_co_u32_e32 v6, vcc, 0, v12, vcc
	v_add_co_u32_e32 v4, vcc, v4, v11
	v_addc_co_u32_e32 v6, vcc, 0, v6, vcc
	v_mul_lo_u32 v11, s25, v4
	v_mul_lo_u32 v12, s24, v6
	v_mad_u64_u32 v[9:10], s[0:1], s24, v4, 0
	v_add3_u32 v10, v10, v12, v11
	v_sub_u32_e32 v11, v8, v10
	v_mov_b32_e32 v12, s25
	v_sub_co_u32_e32 v9, vcc, v7, v9
	v_subb_co_u32_e64 v11, s[0:1], v11, v12, vcc
	v_subrev_co_u32_e64 v12, s[0:1], s24, v9
	v_subbrev_co_u32_e64 v11, s[0:1], 0, v11, s[0:1]
	v_cmp_le_u32_e64 s[0:1], s25, v11
	v_cndmask_b32_e64 v13, 0, -1, s[0:1]
	v_cmp_le_u32_e64 s[0:1], s24, v12
	v_cndmask_b32_e64 v12, 0, -1, s[0:1]
	v_cmp_eq_u32_e64 s[0:1], s25, v11
	v_cndmask_b32_e64 v11, v13, v12, s[0:1]
	v_add_co_u32_e64 v12, s[0:1], 2, v4
	v_addc_co_u32_e64 v13, s[0:1], 0, v6, s[0:1]
	v_add_co_u32_e64 v14, s[0:1], 1, v4
	v_addc_co_u32_e64 v15, s[0:1], 0, v6, s[0:1]
	v_subb_co_u32_e32 v10, vcc, v8, v10, vcc
	v_cmp_ne_u32_e64 s[0:1], 0, v11
	v_cmp_le_u32_e32 vcc, s25, v10
	v_cndmask_b32_e64 v11, v15, v13, s[0:1]
	v_cndmask_b32_e64 v13, 0, -1, vcc
	v_cmp_le_u32_e32 vcc, s24, v9
	v_cndmask_b32_e64 v9, 0, -1, vcc
	v_cmp_eq_u32_e32 vcc, s25, v10
	v_cndmask_b32_e32 v9, v13, v9, vcc
	v_cmp_ne_u32_e32 vcc, 0, v9
	v_cndmask_b32_e32 v27, v6, v11, vcc
	v_cndmask_b32_e64 v6, v14, v12, s[0:1]
	v_cndmask_b32_e32 v26, v4, v6, vcc
.LBB0_4:                                ;   in Loop: Header=BB0_2 Depth=1
	s_andn2_saveexec_b64 s[0:1], s[26:27]
	s_cbranch_execz .LBB0_6
; %bb.5:                                ;   in Loop: Header=BB0_2 Depth=1
	v_cvt_f32_u32_e32 v4, s24
	s_sub_i32 s26, 0, s24
	v_mov_b32_e32 v27, v5
	v_rcp_iflag_f32_e32 v4, v4
	v_mul_f32_e32 v4, 0x4f7ffffe, v4
	v_cvt_u32_f32_e32 v4, v4
	v_mul_lo_u32 v6, s26, v4
	v_mul_hi_u32 v6, v4, v6
	v_add_u32_e32 v4, v4, v6
	v_mul_hi_u32 v4, v7, v4
	v_mul_lo_u32 v6, v4, s24
	v_add_u32_e32 v9, 1, v4
	v_sub_u32_e32 v6, v7, v6
	v_subrev_u32_e32 v10, s24, v6
	v_cmp_le_u32_e32 vcc, s24, v6
	v_cndmask_b32_e32 v6, v6, v10, vcc
	v_cndmask_b32_e32 v4, v4, v9, vcc
	v_add_u32_e32 v9, 1, v4
	v_cmp_le_u32_e32 vcc, s24, v6
	v_cndmask_b32_e32 v26, v4, v9, vcc
.LBB0_6:                                ;   in Loop: Header=BB0_2 Depth=1
	s_or_b64 exec, exec, s[0:1]
	v_mul_lo_u32 v4, v27, s24
	v_mul_lo_u32 v6, v26, s25
	v_mad_u64_u32 v[9:10], s[0:1], v26, s24, 0
	s_load_dwordx2 s[0:1], s[6:7], 0x0
	s_load_dwordx2 s[24:25], s[2:3], 0x0
	v_add3_u32 v4, v10, v6, v4
	v_sub_co_u32_e32 v6, vcc, v7, v9
	v_subb_co_u32_e32 v4, vcc, v8, v4, vcc
	s_waitcnt lgkmcnt(0)
	v_mul_lo_u32 v7, s0, v4
	v_mul_lo_u32 v8, s1, v6
	v_mad_u64_u32 v[1:2], s[0:1], s0, v6, v[1:2]
	s_add_u32 s22, s22, 1
	s_addc_u32 s23, s23, 0
	s_add_u32 s2, s2, 8
	v_mul_lo_u32 v4, s24, v4
	v_mul_lo_u32 v9, s25, v6
	v_mad_u64_u32 v[24:25], s[0:1], s24, v6, v[24:25]
	v_add3_u32 v2, v8, v2, v7
	s_addc_u32 s3, s3, 0
	v_mov_b32_e32 v6, s14
	s_add_u32 s6, s6, 8
	v_mov_b32_e32 v7, s15
	s_addc_u32 s7, s7, 0
	v_cmp_ge_u64_e32 vcc, s[22:23], v[6:7]
	s_add_u32 s20, s20, 8
	v_add3_u32 v25, v9, v25, v4
	s_addc_u32 s21, s21, 0
	s_cbranch_vccnz .LBB0_8
; %bb.7:                                ;   in Loop: Header=BB0_2 Depth=1
	v_mov_b32_e32 v7, v26
	v_mov_b32_e32 v8, v27
	s_branch .LBB0_2
.LBB0_8:
	s_mov_b32 s0, 0xaaaaaaab
	s_load_dwordx2 s[2:3], s[4:5], 0x28
	v_mul_hi_u32 v4, v3, s0
	s_lshl_b64 s[6:7], s[14:15], 3
	s_add_u32 s4, s18, s6
	s_addc_u32 s5, s19, s7
	v_lshrrev_b32_e32 v4, 1, v4
	v_lshl_add_u32 v4, v4, 1, v4
	s_waitcnt lgkmcnt(0)
	v_cmp_gt_u64_e64 s[0:1], s[2:3], v[26:27]
	v_cmp_le_u64_e32 vcc, s[2:3], v[26:27]
	v_sub_u32_e32 v3, v3, v4
                                        ; implicit-def: $vgpr28
	s_and_saveexec_b64 s[2:3], vcc
	s_xor_b64 s[2:3], exec, s[2:3]
; %bb.9:
	s_mov_b32 s14, 0x3c3c3c4
	v_mul_hi_u32 v1, v0, s14
	v_mul_u32_u24_e32 v1, 0x44, v1
	v_sub_u32_e32 v28, v0, v1
                                        ; implicit-def: $vgpr0
                                        ; implicit-def: $vgpr1_vgpr2
; %bb.10:
	s_or_saveexec_b64 s[2:3], s[2:3]
	s_load_dwordx2 s[4:5], s[4:5], 0x0
	v_mul_u32_u24_e32 v3, 0x3fd, v3
	v_lshlrev_b32_e32 v41, 3, v3
	s_xor_b64 exec, exec, s[2:3]
	s_cbranch_execz .LBB0_14
; %bb.11:
	s_add_u32 s6, s16, s6
	s_addc_u32 s7, s17, s7
	s_load_dwordx2 s[6:7], s[6:7], 0x0
	s_mov_b32 s14, 0x3c3c3c4
	v_mul_hi_u32 v6, v0, s14
	v_lshlrev_b64 v[1:2], 3, v[1:2]
	s_waitcnt lgkmcnt(0)
	v_mul_lo_u32 v7, s7, v26
	v_mul_lo_u32 v8, s6, v27
	v_mad_u64_u32 v[4:5], s[6:7], s6, v26, 0
	v_mul_u32_u24_e32 v6, 0x44, v6
	v_sub_u32_e32 v28, v0, v6
	v_add3_u32 v5, v5, v8, v7
	v_lshlrev_b64 v[4:5], 3, v[4:5]
	v_mov_b32_e32 v0, s9
	v_add_co_u32_e32 v4, vcc, s8, v4
	v_addc_co_u32_e32 v0, vcc, v0, v5, vcc
	v_add_co_u32_e32 v1, vcc, v4, v1
	v_addc_co_u32_e32 v0, vcc, v0, v2, vcc
	v_lshlrev_b32_e32 v2, 3, v28
	v_add_co_u32_e32 v4, vcc, v1, v2
	v_addc_co_u32_e32 v5, vcc, 0, v0, vcc
	s_movk_i32 s6, 0x1000
	v_add_co_u32_e32 v14, vcc, s6, v4
	global_load_dwordx2 v[6:7], v[4:5], off
	global_load_dwordx2 v[8:9], v[4:5], off offset:544
	global_load_dwordx2 v[10:11], v[4:5], off offset:1088
	;; [unrolled: 1-line block ×3, first 2 shown]
	v_addc_co_u32_e32 v15, vcc, 0, v5, vcc
	global_load_dwordx2 v[16:17], v[4:5], off offset:2176
	global_load_dwordx2 v[18:19], v[4:5], off offset:2720
	;; [unrolled: 1-line block ×11, first 2 shown]
	s_movk_i32 s6, 0x43
	v_add3_u32 v2, 0, v41, v2
	v_cmp_eq_u32_e32 vcc, s6, v28
	v_add_u32_e32 v4, 0x800, v2
	v_add_u32_e32 v5, 0x1000, v2
	v_add_u32_e32 v14, 0x1800, v2
	s_waitcnt vmcnt(13)
	ds_write2_b64 v2, v[6:7], v[8:9] offset1:68
	s_waitcnt vmcnt(11)
	ds_write2_b64 v2, v[10:11], v[12:13] offset0:136 offset1:204
	s_waitcnt vmcnt(9)
	ds_write2_b64 v4, v[16:17], v[18:19] offset0:16 offset1:84
	;; [unrolled: 2-line block ×6, first 2 shown]
	s_waitcnt vmcnt(0)
	ds_write_b64 v2, v[42:43] offset:7616
	s_and_saveexec_b64 s[6:7], vcc
	s_cbranch_execz .LBB0_13
; %bb.12:
	v_add_co_u32_e32 v4, vcc, 0x1000, v1
	v_addc_co_u32_e32 v5, vcc, 0, v0, vcc
	global_load_dwordx2 v[0:1], v[4:5], off offset:4064
	v_mov_b32_e32 v28, 0x43
	s_waitcnt vmcnt(0)
	ds_write_b64 v2, v[0:1] offset:7624
.LBB0_13:
	s_or_b64 exec, exec, s[6:7]
.LBB0_14:
	s_or_b64 exec, exec, s[2:3]
	v_lshl_add_u32 v40, v3, 3, 0
	v_lshlrev_b32_e32 v0, 3, v28
	v_add_u32_e32 v42, v40, v0
	s_waitcnt lgkmcnt(0)
	s_barrier
	v_sub_u32_e32 v4, v40, v0
	ds_read_b32 v5, v42
	ds_read_b32 v6, v4 offset:8160
	s_add_u32 s6, s12, 0x1fd0
	s_addc_u32 s7, s13, 0
	v_cmp_ne_u32_e32 vcc, 0, v28
                                        ; implicit-def: $vgpr0_vgpr1
	s_waitcnt lgkmcnt(0)
	v_add_f32_e32 v2, v6, v5
	v_sub_f32_e32 v3, v5, v6
	s_and_saveexec_b64 s[2:3], vcc
	s_xor_b64 s[2:3], exec, s[2:3]
	s_cbranch_execz .LBB0_16
; %bb.15:
	v_mov_b32_e32 v29, 0
	v_lshlrev_b64 v[0:1], 3, v[28:29]
	v_mov_b32_e32 v2, s7
	v_add_co_u32_e32 v0, vcc, s6, v0
	v_addc_co_u32_e32 v1, vcc, v2, v1, vcc
	global_load_dwordx2 v[0:1], v[0:1], off
	ds_read_b32 v2, v4 offset:8164
	ds_read_b32 v3, v42 offset:4
	v_add_f32_e32 v7, v6, v5
	v_sub_f32_e32 v8, v5, v6
	s_waitcnt lgkmcnt(0)
	v_add_f32_e32 v9, v2, v3
	v_sub_f32_e32 v2, v3, v2
	s_waitcnt vmcnt(0)
	v_fma_f32 v10, v8, v1, v7
	v_fma_f32 v3, v9, v1, v2
	v_fma_f32 v5, -v8, v1, v7
	v_fma_f32 v6, v9, v1, -v2
	v_fma_f32 v2, -v0, v9, v10
	v_fmac_f32_e32 v3, v8, v0
	v_fmac_f32_e32 v5, v0, v9
	;; [unrolled: 1-line block ×3, first 2 shown]
	v_mov_b32_e32 v0, v28
	ds_write_b64 v4, v[5:6] offset:8160
	v_mov_b32_e32 v1, v29
.LBB0_16:
	s_andn2_saveexec_b64 s[2:3], s[2:3]
	s_cbranch_execz .LBB0_18
; %bb.17:
	ds_read_b64 v[0:1], v40 offset:4080
	s_waitcnt lgkmcnt(0)
	v_add_f32_e32 v5, v0, v0
	v_mul_f32_e32 v6, -2.0, v1
	v_mov_b32_e32 v0, 0
	v_mov_b32_e32 v1, 0
	ds_write_b64 v40, v[5:6] offset:4080
.LBB0_18:
	s_or_b64 exec, exec, s[2:3]
	v_lshlrev_b64 v[0:1], 3, v[0:1]
	v_mov_b32_e32 v5, s7
	v_add_co_u32_e32 v0, vcc, s6, v0
	v_addc_co_u32_e32 v1, vcc, v5, v1, vcc
	global_load_dwordx2 v[5:6], v[0:1], off offset:544
	global_load_dwordx2 v[7:8], v[0:1], off offset:1088
	;; [unrolled: 1-line block ×4, first 2 shown]
	ds_write_b64 v42, v[2:3]
	ds_read_b64 v[2:3], v42 offset:544
	ds_read_b64 v[13:14], v4 offset:7616
	global_load_dwordx2 v[15:16], v[0:1], off offset:2720
	v_cmp_gt_u32_e32 vcc, 34, v28
	s_waitcnt lgkmcnt(0)
	v_add_f32_e32 v17, v2, v13
	v_add_f32_e32 v18, v14, v3
	v_sub_f32_e32 v19, v2, v13
	v_sub_f32_e32 v13, v3, v14
	s_waitcnt vmcnt(4)
	v_fma_f32 v20, v19, v6, v17
	v_fma_f32 v14, v18, v6, v13
	v_fma_f32 v2, -v19, v6, v17
	v_fma_f32 v3, v18, v6, -v13
	v_fma_f32 v13, -v5, v18, v20
	v_fmac_f32_e32 v14, v19, v5
	v_fmac_f32_e32 v2, v5, v18
	;; [unrolled: 1-line block ×3, first 2 shown]
	ds_write_b64 v42, v[13:14] offset:544
	ds_write_b64 v4, v[2:3] offset:7616
	ds_read_b64 v[2:3], v42 offset:1088
	ds_read_b64 v[5:6], v4 offset:7072
	global_load_dwordx2 v[13:14], v[0:1], off offset:3264
	s_waitcnt lgkmcnt(0)
	v_add_f32_e32 v17, v2, v5
	v_add_f32_e32 v18, v6, v3
	v_sub_f32_e32 v19, v2, v5
	v_sub_f32_e32 v2, v3, v6
	s_waitcnt vmcnt(4)
	v_fma_f32 v20, v19, v8, v17
	v_fma_f32 v3, v18, v8, v2
	v_fma_f32 v5, -v19, v8, v17
	v_fma_f32 v6, v18, v8, -v2
	v_fma_f32 v2, -v7, v18, v20
	v_fmac_f32_e32 v3, v19, v7
	v_fmac_f32_e32 v5, v7, v18
	v_fmac_f32_e32 v6, v19, v7
	ds_write_b64 v42, v[2:3] offset:1088
	ds_write_b64 v4, v[5:6] offset:7072
	ds_read_b64 v[2:3], v42 offset:1632
	ds_read_b64 v[5:6], v4 offset:6528
	s_waitcnt lgkmcnt(0)
	v_add_f32_e32 v7, v2, v5
	v_add_f32_e32 v8, v6, v3
	v_sub_f32_e32 v17, v2, v5
	v_sub_f32_e32 v2, v3, v6
	s_waitcnt vmcnt(3)
	v_fma_f32 v18, v17, v10, v7
	v_fma_f32 v3, v8, v10, v2
	v_fma_f32 v5, -v17, v10, v7
	v_fma_f32 v6, v8, v10, -v2
	v_fma_f32 v2, -v9, v8, v18
	v_fmac_f32_e32 v3, v17, v9
	v_fmac_f32_e32 v5, v9, v8
	v_fmac_f32_e32 v6, v17, v9
	ds_write_b64 v42, v[2:3] offset:1632
	ds_write_b64 v4, v[5:6] offset:6528
	ds_read_b64 v[2:3], v42 offset:2176
	ds_read_b64 v[5:6], v4 offset:5984
	;; [unrolled: 18-line block ×4, first 2 shown]
	s_waitcnt lgkmcnt(0)
	v_add_f32_e32 v7, v2, v5
	v_add_f32_e32 v8, v6, v3
	v_sub_f32_e32 v9, v2, v5
	v_sub_f32_e32 v2, v3, v6
	s_waitcnt vmcnt(0)
	v_fma_f32 v10, v9, v14, v7
	v_fma_f32 v3, v8, v14, v2
	v_fma_f32 v5, -v9, v14, v7
	v_fma_f32 v6, v8, v14, -v2
	v_fma_f32 v2, -v13, v8, v10
	v_fmac_f32_e32 v3, v9, v13
	v_fmac_f32_e32 v5, v13, v8
	;; [unrolled: 1-line block ×3, first 2 shown]
	ds_write_b64 v42, v[2:3] offset:3264
	ds_write_b64 v4, v[5:6] offset:4896
	s_and_saveexec_b64 s[2:3], vcc
	s_cbranch_execz .LBB0_20
; %bb.19:
	global_load_dwordx2 v[0:1], v[0:1], off offset:3808
	ds_read_b64 v[2:3], v42 offset:3808
	ds_read_b64 v[5:6], v4 offset:4352
	s_waitcnt lgkmcnt(0)
	v_add_f32_e32 v7, v2, v5
	v_add_f32_e32 v8, v6, v3
	v_sub_f32_e32 v9, v2, v5
	v_sub_f32_e32 v3, v3, v6
	s_waitcnt vmcnt(0)
	v_fma_f32 v10, v9, v1, v7
	v_fma_f32 v2, v8, v1, v3
	v_fma_f32 v5, -v9, v1, v7
	v_fma_f32 v6, v8, v1, -v3
	v_fma_f32 v1, -v0, v8, v10
	v_fmac_f32_e32 v2, v9, v0
	v_fmac_f32_e32 v5, v0, v8
	;; [unrolled: 1-line block ×3, first 2 shown]
	ds_write_b64 v42, v[1:2] offset:3808
	ds_write_b64 v4, v[5:6] offset:4352
.LBB0_20:
	s_or_b64 exec, exec, s[2:3]
	v_lshl_add_u32 v0, v28, 3, 0
	v_add_u32_e32 v43, v0, v41
	v_add_u32_e32 v4, 0x1000, v43
	s_waitcnt lgkmcnt(0)
	s_barrier
	s_barrier
	ds_read2_b64 v[0:3], v43 offset0:68 offset1:136
	ds_read2_b64 v[4:7], v4 offset0:66 offset1:134
	v_add_u32_e32 v8, 0x400, v43
	ds_read2_b64 v[16:19], v8 offset0:76 offset1:144
	v_add_u32_e32 v8, 0x1400, v43
	ds_read2_b64 v[29:32], v8 offset0:74 offset1:142
	s_waitcnt lgkmcnt(2)
	v_sub_f32_e32 v14, v2, v6
	v_sub_f32_e32 v10, v0, v4
	;; [unrolled: 1-line block ×4, first 2 shown]
	v_fma_f32 v22, v2, 2.0, -v14
	v_add_u32_e32 v2, 0x1800, v43
	v_fma_f32 v20, v0, 2.0, -v10
	v_fma_f32 v21, v1, 2.0, -v11
	;; [unrolled: 1-line block ×3, first 2 shown]
	s_waitcnt lgkmcnt(0)
	v_sub_f32_e32 v6, v16, v29
	v_sub_f32_e32 v7, v17, v30
	;; [unrolled: 1-line block ×4, first 2 shown]
	v_add_u32_e32 v13, 0x800, v43
	ds_read2_b64 v[2:5], v2 offset0:82 offset1:150
	ds_read2_b64 v[29:32], v13 offset0:84 offset1:152
	v_fma_f32 v35, v16, 2.0, -v6
	v_fma_f32 v36, v17, 2.0, -v7
	v_fma_f32 v8, v18, 2.0, -v0
	v_fma_f32 v9, v19, 2.0, -v1
	s_waitcnt lgkmcnt(0)
	v_sub_f32_e32 v18, v29, v2
	v_sub_f32_e32 v19, v30, v3
	;; [unrolled: 1-line block ×4, first 2 shown]
	ds_read2_b64 v[2:5], v13 offset0:220 offset1:254
	ds_read_b64 v[33:34], v43 offset:7888
	ds_read_b64 v[44:45], v42
	v_fma_f32 v12, v29, 2.0, -v18
	v_fma_f32 v29, v31, 2.0, -v16
	s_waitcnt lgkmcnt(0)
	v_sub_f32_e32 v31, v2, v33
	v_sub_f32_e32 v37, v44, v4
	;; [unrolled: 1-line block ×3, first 2 shown]
	v_fma_f32 v33, v2, 2.0, -v31
	v_lshlrev_b32_e32 v2, 4, v28
	v_fma_f32 v4, v44, 2.0, -v37
	v_fma_f32 v5, v45, 2.0, -v38
	v_add3_u32 v2, 0, v2, v41
	v_add_u32_e32 v45, 0x44, v28
	s_barrier
	ds_write2_b64 v2, v[4:5], v[37:38] offset1:1
	v_lshlrev_b32_e32 v2, 4, v45
	v_add3_u32 v2, 0, v2, v41
	v_add_u32_e32 v44, 0x88, v28
	ds_write2_b64 v2, v[20:21], v[10:11] offset1:1
	v_lshlrev_b32_e32 v2, 4, v44
	v_add3_u32 v2, 0, v2, v41
	v_add_u32_e32 v47, 0xcc, v28
	;; [unrolled: 4-line block ×4, first 2 shown]
	ds_write2_b64 v2, v[8:9], v[0:1] offset1:1
	v_lshlrev_b32_e32 v2, 4, v50
	v_fma_f32 v13, v30, 2.0, -v19
	v_add3_u32 v2, 0, v2, v41
	v_add_u32_e32 v49, 0x198, v28
	v_fma_f32 v30, v32, 2.0, -v17
	v_sub_f32_e32 v32, v3, v34
	ds_write2_b64 v2, v[12:13], v[18:19] offset1:1
	v_lshlrev_b32_e32 v2, 4, v49
	v_fma_f32 v34, v3, 2.0, -v32
	v_add3_u32 v2, 0, v2, v41
	v_add_u32_e32 v48, 0x1dc, v28
	ds_write2_b64 v2, v[29:30], v[16:17] offset1:1
	s_and_saveexec_b64 s[2:3], vcc
	s_cbranch_execz .LBB0_22
; %bb.21:
	v_lshlrev_b32_e32 v2, 4, v48
	v_add3_u32 v2, 0, v2, v41
	ds_write2_b64 v2, v[33:34], v[31:32] offset1:1
.LBB0_22:
	s_or_b64 exec, exec, s[2:3]
	v_cmp_gt_u32_e64 s[2:3], 60, v28
	s_waitcnt lgkmcnt(0)
	s_barrier
	s_waitcnt lgkmcnt(0)
                                        ; implicit-def: $vgpr3
	s_and_saveexec_b64 s[6:7], s[2:3]
	s_cbranch_execz .LBB0_24
; %bb.23:
	v_add_u32_e32 v0, 0x800, v43
	ds_read_b64 v[4:5], v42
	ds_read2_b64 v[51:54], v43 offset0:60 offset1:120
	ds_read2_b64 v[20:23], v43 offset0:180 offset1:240
	;; [unrolled: 1-line block ×4, first 2 shown]
	v_add_u32_e32 v0, 0x1000, v43
	ds_read2_b64 v[10:13], v0 offset0:28 offset1:88
	ds_read2_b64 v[14:17], v0 offset0:148 offset1:208
	v_add_u32_e32 v0, 0x1800, v43
	ds_read2_b64 v[35:38], v0 offset0:12 offset1:72
	ds_read2_b64 v[0:3], v0 offset0:132 offset1:192
	s_waitcnt lgkmcnt(2)
	v_mov_b32_e32 v30, v17
	v_mov_b32_e32 v29, v16
	s_waitcnt lgkmcnt(1)
	v_mov_b32_e32 v34, v38
	v_mov_b32_e32 v33, v37
	;; [unrolled: 3-line block ×3, first 2 shown]
	v_mov_b32_e32 v17, v36
	v_mov_b32_e32 v16, v35
	;; [unrolled: 1-line block ×16, first 2 shown]
.LBB0_24:
	s_or_b64 exec, exec, s[6:7]
	v_and_b32_e32 v39, 1, v28
	v_lshlrev_b32_e32 v51, 7, v39
	global_load_dwordx4 v[67:70], v51, s[12:13]
	global_load_dwordx4 v[71:74], v51, s[12:13] offset:16
	global_load_dwordx4 v[75:78], v51, s[12:13] offset:32
	;; [unrolled: 1-line block ×7, first 2 shown]
	s_mov_b32 s8, 0x3f3d2fb0
	s_mov_b32 s9, 0x3dbcf732
	;; [unrolled: 1-line block ×8, first 2 shown]
	s_waitcnt vmcnt(0)
	s_barrier
	v_mul_f32_e32 v51, v37, v68
	v_mul_f32_e32 v99, v38, v68
	v_mul_f32_e32 v68, v21, v70
	v_mul_f32_e32 v52, v20, v70
	v_mul_f32_e32 v70, v11, v72
	v_mul_f32_e32 v53, v10, v72
	v_mul_f32_e32 v72, v23, v74
	v_mul_f32_e32 v61, v2, v98
	v_mul_f32_e32 v54, v22, v74
	v_mul_f32_e32 v74, v15, v76
	v_mul_f32_e32 v55, v14, v76
	v_mul_f32_e32 v76, v36, v78
	v_mul_f32_e32 v56, v35, v78
	v_mul_f32_e32 v78, v7, v80
	v_mul_f32_e32 v57, v6, v80
	v_mul_f32_e32 v66, v31, v96
	v_fmac_f32_e32 v51, v38, v67
	v_fmac_f32_e32 v61, v3, v97
	v_mul_f32_e32 v80, v9, v82
	v_mul_f32_e32 v58, v8, v82
	v_mul_f32_e32 v82, v1, v84
	v_mul_f32_e32 v59, v0, v84
	v_mul_f32_e32 v84, v13, v86
	v_mul_f32_e32 v60, v12, v86
	v_mul_f32_e32 v86, v19, v88
	v_mul_f32_e32 v62, v18, v88
	v_mul_f32_e32 v88, v30, v90
	v_mul_f32_e32 v63, v29, v90
	v_mul_f32_e32 v90, v17, v92
	v_mul_f32_e32 v64, v16, v92
	v_mul_f32_e32 v92, v34, v94
	v_mul_f32_e32 v65, v33, v94
	v_mul_f32_e32 v94, v32, v96
	v_mul_f32_e32 v96, v3, v98
	v_fmac_f32_e32 v52, v21, v69
	v_fmac_f32_e32 v56, v36, v77
	v_fma_f32 v36, v6, v79, -v78
	v_fmac_f32_e32 v57, v7, v79
	v_fmac_f32_e32 v66, v32, v95
	v_sub_f32_e32 v79, v51, v61
	v_fma_f32 v37, v37, v67, -v99
	v_fma_f32 v38, v20, v69, -v68
	;; [unrolled: 1-line block ×3, first 2 shown]
	v_fmac_f32_e32 v53, v11, v71
	v_fmac_f32_e32 v54, v23, v73
	v_fma_f32 v23, v14, v75, -v74
	v_fmac_f32_e32 v55, v15, v75
	v_fma_f32 v68, v8, v81, -v80
	v_fma_f32 v71, v18, v87, -v86
	;; [unrolled: 1-line block ×3, first 2 shown]
	v_mul_f32_e32 v86, 0xbf2c7751, v79
	v_sub_f32_e32 v80, v52, v66
	v_fma_f32 v22, v22, v73, -v72
	v_fmac_f32_e32 v58, v9, v81
	v_fma_f32 v69, v0, v83, -v82
	v_fma_f32 v72, v29, v89, -v88
	v_fmac_f32_e32 v65, v34, v93
	v_fma_f32 v34, v31, v95, -v94
	v_add_f32_e32 v10, v37, v75
	v_sub_f32_e32 v81, v37, v75
	v_mov_b32_e32 v0, v86
	v_mul_f32_e32 v88, 0xbf7ee86f, v80
	v_fmac_f32_e32 v59, v1, v83
	v_fma_f32 v70, v12, v85, -v84
	v_fma_f32 v74, v33, v93, -v92
	v_add_f32_e32 v12, v51, v61
	v_add_f32_e32 v11, v38, v34
	v_sub_f32_e32 v83, v38, v34
	v_mul_f32_e32 v92, 0xbf2c7751, v81
	v_fmac_f32_e32 v0, 0x3f3d2fb0, v10
	v_mov_b32_e32 v2, v88
	v_fmac_f32_e32 v60, v13, v85
	v_add_f32_e32 v13, v52, v66
	v_fma_f32 v1, v12, s8, -v92
	v_add_f32_e32 v0, v4, v0
	v_mul_f32_e32 v93, 0xbf7ee86f, v83
	v_fmac_f32_e32 v2, 0x3dbcf732, v11
	v_sub_f32_e32 v82, v53, v65
	v_fma_f32 v73, v16, v91, -v90
	v_fmac_f32_e32 v64, v17, v91
	v_add_f32_e32 v1, v5, v1
	v_add_f32_e32 v0, v2, v0
	v_fma_f32 v2, v13, s9, -v93
	v_mul_f32_e32 v91, 0xbf4c4adb, v82
	v_add_f32_e32 v1, v2, v1
	v_add_f32_e32 v14, v67, v74
	v_sub_f32_e32 v85, v67, v74
	v_mov_b32_e32 v2, v91
	v_add_f32_e32 v16, v53, v65
	v_mul_f32_e32 v97, 0xbf4c4adb, v85
	v_fmac_f32_e32 v2, 0xbf1a4643, v14
	v_sub_f32_e32 v84, v54, v64
	v_add_f32_e32 v0, v2, v0
	v_fma_f32 v2, v16, s14, -v97
	v_mul_f32_e32 v94, 0xbe3c28d5, v84
	v_fmac_f32_e32 v63, v30, v89
	v_add_f32_e32 v1, v2, v1
	v_add_f32_e32 v15, v22, v73
	v_mov_b32_e32 v2, v94
	v_sub_f32_e32 v89, v22, v73
	v_fmac_f32_e32 v62, v19, v87
	v_fmac_f32_e32 v2, 0xbf7ba420, v15
	v_add_f32_e32 v18, v54, v64
	v_mul_f32_e32 v102, 0xbe3c28d5, v89
	v_sub_f32_e32 v87, v55, v63
	v_add_f32_e32 v0, v2, v0
	v_fma_f32 v2, v18, s15, -v102
	v_mul_f32_e32 v100, 0x3f06c442, v87
	v_add_f32_e32 v1, v2, v1
	v_add_f32_e32 v17, v23, v72
	v_mov_b32_e32 v2, v100
	v_sub_f32_e32 v95, v23, v72
	v_fmac_f32_e32 v2, 0xbf59a7d5, v17
	v_add_f32_e32 v20, v55, v63
	v_mul_f32_e32 v105, 0x3f06c442, v95
	v_sub_f32_e32 v90, v56, v62
	v_fma_f32 v35, v35, v77, -v76
	v_add_f32_e32 v0, v2, v0
	v_fma_f32 v2, v20, s16, -v105
	v_mul_f32_e32 v104, 0x3f763a35, v90
	v_add_f32_e32 v1, v2, v1
	v_add_f32_e32 v19, v35, v71
	v_mov_b32_e32 v2, v104
	v_sub_f32_e32 v98, v35, v71
	v_fmac_f32_e32 v2, 0xbe8c1d8e, v19
	v_add_f32_e32 v33, v56, v62
	v_mul_f32_e32 v107, 0x3f763a35, v98
	v_sub_f32_e32 v96, v57, v60
	v_add_f32_e32 v0, v2, v0
	v_fma_f32 v2, v33, s17, -v107
	v_mul_f32_e32 v106, 0x3f65296c, v96
	v_add_f32_e32 v1, v2, v1
	v_add_f32_e32 v21, v36, v70
	v_mov_b32_e32 v2, v106
	v_sub_f32_e32 v103, v36, v70
	v_fmac_f32_e32 v2, 0x3ee437d1, v21
	v_add_f32_e32 v77, v57, v60
	v_mul_f32_e32 v109, 0x3f65296c, v103
	v_sub_f32_e32 v99, v58, v59
	v_add_f32_e32 v0, v2, v0
	v_fma_f32 v2, v77, s18, -v109
	v_mul_f32_e32 v108, 0x3eb8f4ab, v99
	v_add_f32_e32 v1, v2, v1
	v_add_f32_e32 v76, v68, v69
	v_mov_b32_e32 v2, v108
	v_sub_f32_e32 v101, v68, v69
	v_fmac_f32_e32 v2, 0x3f6eb680, v76
	v_add_f32_e32 v78, v58, v59
	v_mul_f32_e32 v110, 0x3eb8f4ab, v101
	v_add_f32_e32 v29, v2, v0
	v_fma_f32 v0, v78, s19, -v110
	v_mul_f32_e32 v111, 0xbf65296c, v79
	v_add_f32_e32 v30, v0, v1
	v_mov_b32_e32 v0, v111
	v_mul_f32_e32 v112, 0xbf4c4adb, v80
	v_fmac_f32_e32 v0, 0x3ee437d1, v10
	v_mov_b32_e32 v1, v112
	v_add_f32_e32 v0, v4, v0
	v_fmac_f32_e32 v1, 0xbf1a4643, v11
	v_mul_f32_e32 v119, 0xbf65296c, v81
	v_add_f32_e32 v0, v1, v0
	v_fma_f32 v1, v12, s18, -v119
	v_mul_f32_e32 v120, 0xbf4c4adb, v83
	v_add_f32_e32 v1, v5, v1
	v_fma_f32 v2, v13, s14, -v120
	v_mul_f32_e32 v113, 0x3e3c28d5, v82
	v_add_f32_e32 v1, v2, v1
	v_mov_b32_e32 v2, v113
	v_fmac_f32_e32 v2, 0xbf7ba420, v14
	v_mul_f32_e32 v121, 0x3e3c28d5, v85
	v_add_f32_e32 v0, v2, v0
	v_fma_f32 v2, v16, s15, -v121
	v_mul_f32_e32 v114, 0x3f763a35, v84
	v_add_f32_e32 v1, v2, v1
	v_mov_b32_e32 v2, v114
	v_fmac_f32_e32 v2, 0xbe8c1d8e, v15
	;; [unrolled: 7-line block ×6, first 2 shown]
	v_mul_f32_e32 v126, 0xbf06c442, v101
	v_add_f32_e32 v31, v2, v0
	v_fma_f32 v0, v78, s16, -v126
	v_add_f32_e32 v32, v0, v1
	s_and_saveexec_b64 s[6:7], s[2:3]
	s_cbranch_execz .LBB0_26
; %bb.25:
	v_mul_f32_e32 v129, 0xbe8c1d8e, v12
	v_mov_b32_e32 v0, v129
	v_mul_f32_e32 v130, 0xbf59a7d5, v13
	v_fmac_f32_e32 v0, 0x3f763a35, v81
	v_mov_b32_e32 v1, v130
	v_add_f32_e32 v0, v5, v0
	v_fmac_f32_e32 v1, 0xbf06c442, v83
	v_mul_f32_e32 v131, 0x3f3d2fb0, v16
	v_add_f32_e32 v0, v1, v0
	v_mov_b32_e32 v1, v131
	v_fmac_f32_e32 v1, 0xbf2c7751, v85
	v_mul_f32_e32 v132, 0x3ee437d1, v18
	v_add_f32_e32 v0, v1, v0
	v_mov_b32_e32 v1, v132
	;; [unrolled: 4-line block ×6, first 2 shown]
	v_mul_f32_e32 v137, 0x3f06c442, v80
	v_fmac_f32_e32 v1, 0xbe8c1d8e, v10
	v_mov_b32_e32 v2, v137
	v_add_f32_e32 v1, v4, v1
	v_fmac_f32_e32 v2, 0xbf59a7d5, v11
	v_mul_f32_e32 v138, 0x3f2c7751, v82
	v_add_f32_e32 v1, v2, v1
	v_mov_b32_e32 v2, v138
	v_fmac_f32_e32 v2, 0x3f3d2fb0, v14
	v_mul_f32_e32 v139, 0xbf65296c, v84
	v_add_f32_e32 v1, v2, v1
	v_mov_b32_e32 v2, v139
	;; [unrolled: 4-line block ×8, first 2 shown]
	v_mul_f32_e32 v9, 0x3ee437d1, v13
	v_fmac_f32_e32 v2, 0x3f06c442, v81
	v_mov_b32_e32 v3, v9
	v_add_f32_e32 v2, v5, v2
	v_fmac_f32_e32 v3, 0xbf65296c, v83
	v_mul_f32_e32 v127, 0x3dbcf732, v16
	v_add_f32_e32 v2, v3, v2
	v_mov_b32_e32 v3, v127
	v_fmac_f32_e32 v3, 0x3f7ee86f, v85
	v_mul_f32_e32 v128, 0xbf1a4643, v18
	v_add_f32_e32 v2, v3, v2
	v_mov_b32_e32 v3, v128
	;; [unrolled: 4-line block ×6, first 2 shown]
	v_mul_f32_e32 v149, 0x3f65296c, v80
	v_fmac_f32_e32 v3, 0xbf59a7d5, v10
	v_mov_b32_e32 v6, v149
	v_add_f32_e32 v3, v4, v3
	v_fmac_f32_e32 v6, 0x3ee437d1, v11
	v_mul_f32_e32 v150, 0xbf7ee86f, v82
	v_add_f32_e32 v3, v6, v3
	v_mov_b32_e32 v6, v150
	v_fmac_f32_e32 v6, 0x3dbcf732, v14
	v_mul_f32_e32 v151, 0x3f4c4adb, v84
	v_add_f32_e32 v3, v6, v3
	v_mov_b32_e32 v6, v151
	;; [unrolled: 4-line block ×7, first 2 shown]
	v_fmac_f32_e32 v8, 0xbf06c442, v81
	v_fmac_f32_e32 v2, 0xbe8c1d8e, v76
	v_mul_f32_e32 v157, 0xbe3c28d5, v81
	v_add_f32_e32 v8, v5, v8
	v_fmac_f32_e32 v9, 0x3f65296c, v83
	v_add_f32_e32 v2, v2, v6
	v_mov_b32_e32 v6, v157
	v_mul_f32_e32 v158, 0x3eb8f4ab, v83
	v_add_f32_e32 v8, v9, v8
	v_fmac_f32_e32 v127, 0xbf7ee86f, v85
	v_fma_f32 v9, v10, s16, -v148
	v_fmac_f32_e32 v6, 0xbf7ba420, v12
	v_mov_b32_e32 v7, v158
	v_add_f32_e32 v8, v127, v8
	v_add_f32_e32 v9, v4, v9
	v_fma_f32 v127, v11, s18, -v149
	v_add_f32_e32 v6, v5, v6
	v_fmac_f32_e32 v7, 0x3f6eb680, v13
	v_mul_f32_e32 v159, 0xbf06c442, v85
	v_fmac_f32_e32 v128, 0x3f4c4adb, v89
	v_add_f32_e32 v9, v127, v9
	v_fma_f32 v127, v14, s9, -v150
	v_add_f32_e32 v6, v7, v6
	v_mov_b32_e32 v7, v159
	v_add_f32_e32 v8, v128, v8
	v_fmac_f32_e32 v145, 0xbeb8f4ab, v95
	v_add_f32_e32 v9, v127, v9
	v_fma_f32 v127, v15, s14, -v151
	v_fmac_f32_e32 v7, 0xbf59a7d5, v16
	v_mul_f32_e32 v160, 0x3f2c7751, v89
	v_add_f32_e32 v8, v145, v8
	v_fmac_f32_e32 v146, 0xbe3c28d5, v98
	v_add_f32_e32 v9, v127, v9
	v_fma_f32 v127, v17, s19, -v152
	v_add_f32_e32 v6, v7, v6
	v_mov_b32_e32 v7, v160
	v_add_f32_e32 v8, v146, v8
	v_fmac_f32_e32 v147, 0x3f2c7751, v103
	v_add_f32_e32 v9, v127, v9
	v_fma_f32 v127, v19, s15, -v153
	v_fmac_f32_e32 v7, 0x3f3d2fb0, v18
	v_mul_f32_e32 v161, 0xbf4c4adb, v95
	v_add_f32_e32 v8, v147, v8
	v_add_f32_e32 v9, v127, v9
	v_fma_f32 v127, v21, s8, -v154
	v_fmac_f32_e32 v155, 0xbf763a35, v101
	v_fmac_f32_e32 v129, 0xbf763a35, v81
	v_add_f32_e32 v6, v7, v6
	v_mov_b32_e32 v7, v161
	v_add_f32_e32 v127, v127, v9
	v_add_f32_e32 v9, v155, v8
	v_fma_f32 v8, v76, s17, -v156
	v_mul_f32_e32 v145, 0xbf4c4adb, v81
	v_add_f32_e32 v129, v5, v129
	v_fmac_f32_e32 v130, 0x3f06c442, v83
	v_fmac_f32_e32 v7, 0xbf1a4643, v20
	v_mul_f32_e32 v162, 0x3f65296c, v98
	v_add_f32_e32 v8, v8, v127
	v_mov_b32_e32 v127, v145
	v_mul_f32_e32 v146, 0x3f763a35, v83
	v_add_f32_e32 v129, v130, v129
	v_fmac_f32_e32 v131, 0x3f2c7751, v85
	v_fma_f32 v130, v10, s17, -v136
	v_add_f32_e32 v6, v7, v6
	v_mov_b32_e32 v7, v162
	v_fmac_f32_e32 v127, 0xbf1a4643, v12
	v_mov_b32_e32 v128, v146
	v_add_f32_e32 v129, v131, v129
	v_add_f32_e32 v130, v4, v130
	v_fma_f32 v131, v11, s16, -v137
	v_fmac_f32_e32 v7, 0x3ee437d1, v33
	v_mul_f32_e32 v163, 0xbf763a35, v103
	v_add_f32_e32 v127, v5, v127
	v_fmac_f32_e32 v128, 0xbe8c1d8e, v13
	v_mul_f32_e32 v147, 0xbeb8f4ab, v85
	v_fmac_f32_e32 v132, 0xbf65296c, v89
	v_add_f32_e32 v130, v131, v130
	v_fma_f32 v131, v14, s8, -v138
	v_add_f32_e32 v6, v7, v6
	v_mov_b32_e32 v7, v163
	v_add_f32_e32 v127, v128, v127
	v_mov_b32_e32 v128, v147
	v_add_f32_e32 v129, v132, v129
	v_fmac_f32_e32 v133, 0xbe3c28d5, v95
	v_add_f32_e32 v130, v131, v130
	v_fma_f32 v131, v15, s18, -v139
	v_fmac_f32_e32 v7, 0xbe8c1d8e, v77
	v_mul_f32_e32 v164, 0xbe3c28d5, v79
	v_fmac_f32_e32 v128, 0x3f6eb680, v16
	v_mul_f32_e32 v148, 0xbf06c442, v89
	v_add_f32_e32 v129, v133, v129
	v_fmac_f32_e32 v134, 0x3f7ee86f, v98
	v_add_f32_e32 v130, v131, v130
	v_fma_f32 v131, v17, s15, -v140
	v_add_f32_e32 v6, v7, v6
	v_fma_f32 v7, v10, s15, -v164
	v_mul_f32_e32 v165, 0x3eb8f4ab, v80
	v_add_f32_e32 v127, v128, v127
	v_mov_b32_e32 v128, v148
	v_add_f32_e32 v129, v134, v129
	v_fmac_f32_e32 v135, 0xbeb8f4ab, v103
	v_add_f32_e32 v130, v131, v130
	v_fma_f32 v131, v19, s9, -v141
	v_add_f32_e32 v7, v4, v7
	v_fma_f32 v166, v11, s19, -v165
	v_fmac_f32_e32 v128, 0xbf59a7d5, v18
	v_mul_f32_e32 v149, 0x3f7ee86f, v95
	v_add_f32_e32 v129, v135, v129
	v_add_f32_e32 v130, v131, v130
	v_fma_f32 v131, v21, s19, -v142
	v_fmac_f32_e32 v143, 0xbf4c4adb, v101
	v_add_f32_e32 v7, v166, v7
	v_mul_f32_e32 v166, 0xbf06c442, v82
	v_add_f32_e32 v127, v128, v127
	v_mov_b32_e32 v128, v149
	v_add_f32_e32 v131, v131, v130
	v_add_f32_e32 v130, v143, v129
	v_fma_f32 v129, v76, s14, -v144
	v_mul_f32_e32 v133, 0xbf7ee86f, v81
	v_fma_f32 v167, v14, s16, -v166
	v_fmac_f32_e32 v128, 0x3dbcf732, v20
	v_mul_f32_e32 v150, 0xbf2c7751, v98
	v_add_f32_e32 v129, v129, v131
	v_mov_b32_e32 v131, v133
	v_mul_f32_e32 v134, 0xbe3c28d5, v83
	v_add_f32_e32 v7, v167, v7
	v_mul_f32_e32 v167, 0x3f2c7751, v84
	v_add_f32_e32 v127, v128, v127
	v_mov_b32_e32 v128, v150
	v_fmac_f32_e32 v131, 0x3dbcf732, v12
	v_mov_b32_e32 v132, v134
	v_fma_f32 v168, v15, s8, -v167
	v_fmac_f32_e32 v128, 0x3f3d2fb0, v33
	v_mul_f32_e32 v151, 0xbe3c28d5, v103
	v_add_f32_e32 v131, v5, v131
	v_fmac_f32_e32 v132, 0xbf7ba420, v13
	v_mul_f32_e32 v135, 0x3f763a35, v85
	v_add_f32_e32 v7, v168, v7
	v_mul_f32_e32 v168, 0xbf4c4adb, v87
	v_add_f32_e32 v127, v128, v127
	v_mov_b32_e32 v128, v151
	v_add_f32_e32 v131, v132, v131
	v_mov_b32_e32 v132, v135
	v_fma_f32 v169, v17, s14, -v168
	v_fmac_f32_e32 v128, 0xbf7ba420, v77
	v_mul_f32_e32 v152, 0xbf4c4adb, v79
	v_fmac_f32_e32 v132, 0xbe8c1d8e, v16
	v_mul_f32_e32 v136, 0x3eb8f4ab, v89
	v_add_f32_e32 v7, v169, v7
	v_mul_f32_e32 v169, 0x3f65296c, v90
	v_add_f32_e32 v127, v128, v127
	v_fma_f32 v128, v10, s14, -v152
	v_mul_f32_e32 v153, 0x3f763a35, v80
	v_add_f32_e32 v131, v132, v131
	v_mov_b32_e32 v132, v136
	v_fma_f32 v170, v19, s18, -v169
	v_add_f32_e32 v128, v4, v128
	v_fma_f32 v154, v11, s17, -v153
	v_fmac_f32_e32 v132, 0x3f6eb680, v18
	v_mul_f32_e32 v137, 0xbf65296c, v95
	v_add_f32_e32 v7, v170, v7
	v_mul_f32_e32 v170, 0xbf763a35, v96
	v_add_f32_e32 v128, v154, v128
	;; [unrolled: 2-line block ×3, first 2 shown]
	v_mov_b32_e32 v132, v137
	v_fma_f32 v171, v21, s17, -v170
	v_mul_f32_e32 v172, 0x3f7ee86f, v101
	v_fma_f32 v155, v14, s19, -v154
	v_fmac_f32_e32 v132, 0x3ee437d1, v20
	v_mul_f32_e32 v138, 0xbf06c442, v98
	v_add_f32_e32 v171, v171, v7
	v_mov_b32_e32 v7, v172
	v_add_f32_e32 v128, v155, v128
	v_mul_f32_e32 v155, 0xbf06c442, v84
	v_add_f32_e32 v131, v132, v131
	v_mov_b32_e32 v132, v138
	v_fmac_f32_e32 v7, 0x3dbcf732, v78
	v_mul_f32_e32 v173, 0x3f7ee86f, v99
	v_fma_f32 v156, v15, s16, -v155
	v_fmac_f32_e32 v132, 0xbf59a7d5, v33
	v_mul_f32_e32 v139, 0x3f4c4adb, v103
	v_add_f32_e32 v7, v7, v6
	v_fma_f32 v6, v76, s9, -v173
	v_add_f32_e32 v128, v156, v128
	v_mul_f32_e32 v156, 0x3f7ee86f, v87
	v_add_f32_e32 v131, v132, v131
	v_mov_b32_e32 v132, v139
	v_add_f32_e32 v6, v6, v171
	v_fma_f32 v171, v17, s9, -v156
	v_fmac_f32_e32 v132, 0xbf1a4643, v77
	v_mul_f32_e32 v140, 0xbf7ee86f, v79
	v_add_f32_e32 v128, v171, v128
	v_mul_f32_e32 v171, 0xbf2c7751, v90
	v_add_f32_e32 v131, v132, v131
	v_fma_f32 v132, v10, s9, -v140
	v_mul_f32_e32 v141, 0xbe3c28d5, v80
	v_fma_f32 v174, v19, s8, -v171
	v_add_f32_e32 v132, v4, v132
	v_fma_f32 v142, v11, s15, -v141
	v_add_f32_e32 v128, v174, v128
	v_mul_f32_e32 v174, 0xbe3c28d5, v96
	v_add_f32_e32 v132, v142, v132
	v_mul_f32_e32 v142, 0x3f763a35, v82
	v_fma_f32 v175, v21, s15, -v174
	v_mul_f32_e32 v176, 0x3f65296c, v101
	v_fma_f32 v143, v14, s17, -v142
	v_add_f32_e32 v175, v175, v128
	v_mov_b32_e32 v128, v176
	v_add_f32_e32 v132, v143, v132
	v_mul_f32_e32 v143, 0x3eb8f4ab, v84
	v_fmac_f32_e32 v128, 0x3ee437d1, v78
	v_mul_f32_e32 v177, 0x3f65296c, v99
	v_fma_f32 v144, v15, s19, -v143
	v_add_f32_e32 v128, v128, v127
	v_fma_f32 v127, v76, s18, -v177
	v_add_f32_e32 v132, v144, v132
	v_mul_f32_e32 v144, 0xbf65296c, v87
	v_add_f32_e32 v127, v127, v175
	v_fma_f32 v175, v17, s18, -v144
	v_add_f32_e32 v132, v175, v132
	v_mul_f32_e32 v175, 0xbf06c442, v90
	v_fma_f32 v178, v19, s16, -v175
	v_add_f32_e32 v132, v178, v132
	v_mul_f32_e32 v178, 0x3f4c4adb, v96
	v_fma_f32 v179, v21, s14, -v178
	v_mul_f32_e32 v180, 0x3f2c7751, v101
	v_add_f32_e32 v179, v179, v132
	v_mov_b32_e32 v132, v180
	v_fmac_f32_e32 v132, 0x3f3d2fb0, v78
	v_mul_f32_e32 v181, 0x3f2c7751, v99
	v_add_f32_e32 v132, v132, v131
	v_fma_f32 v131, v76, s8, -v181
	v_add_f32_e32 v131, v131, v179
	v_mul_f32_e32 v179, 0x3ee437d1, v12
	v_add_f32_e32 v119, v119, v179
	v_mul_f32_e32 v179, 0xbf1a4643, v13
	v_add_f32_e32 v120, v120, v179
	v_add_f32_e32 v119, v5, v119
	;; [unrolled: 1-line block ×3, first 2 shown]
	v_mul_f32_e32 v120, 0xbf7ba420, v16
	v_add_f32_e32 v120, v121, v120
	v_mul_f32_e32 v121, 0x3ee437d1, v10
	v_sub_f32_e32 v111, v121, v111
	v_mul_f32_e32 v121, 0xbf1a4643, v11
	v_sub_f32_e32 v112, v121, v112
	v_add_f32_e32 v111, v4, v111
	v_add_f32_e32 v111, v112, v111
	v_mul_f32_e32 v112, 0xbf7ba420, v14
	v_sub_f32_e32 v112, v112, v113
	v_add_f32_e32 v111, v112, v111
	v_mul_f32_e32 v112, 0xbe8c1d8e, v15
	v_sub_f32_e32 v112, v112, v114
	;; [unrolled: 3-line block ×6, first 2 shown]
	v_add_f32_e32 v111, v113, v111
	v_mul_f32_e32 v113, 0x3f3d2fb0, v12
	v_add_f32_e32 v92, v92, v113
	v_mul_f32_e32 v113, 0x3dbcf732, v13
	v_add_f32_e32 v93, v93, v113
	v_add_f32_e32 v92, v5, v92
	;; [unrolled: 1-line block ×3, first 2 shown]
	v_mul_f32_e32 v93, 0xbf1a4643, v16
	v_add_f32_e32 v93, v97, v93
	v_mul_f32_e32 v97, 0x3f3d2fb0, v10
	v_sub_f32_e32 v86, v97, v86
	v_mul_f32_e32 v97, 0x3dbcf732, v11
	v_sub_f32_e32 v88, v97, v88
	v_add_f32_e32 v86, v4, v86
	v_add_f32_e32 v86, v88, v86
	v_mul_f32_e32 v88, 0xbf1a4643, v14
	v_sub_f32_e32 v88, v88, v91
	v_add_f32_e32 v86, v88, v86
	v_mul_f32_e32 v88, 0xbf7ba420, v15
	v_sub_f32_e32 v88, v88, v94
	;; [unrolled: 3-line block ×5, first 2 shown]
	v_add_f32_e32 v86, v88, v86
	v_mul_f32_e32 v88, 0x3f6eb680, v76
	v_add_f32_e32 v92, v93, v92
	v_mul_f32_e32 v93, 0xbf7ba420, v18
	v_sub_f32_e32 v88, v88, v108
	v_mul_f32_e32 v81, 0xbeb8f4ab, v81
	v_add_f32_e32 v93, v102, v93
	v_add_f32_e32 v91, v88, v86
	v_mov_b32_e32 v86, v81
	v_mul_f32_e32 v83, 0xbf2c7751, v83
	v_add_f32_e32 v92, v93, v92
	v_mul_f32_e32 v93, 0xbf59a7d5, v20
	v_fmac_f32_e32 v86, 0x3f6eb680, v12
	v_mov_b32_e32 v88, v83
	v_add_f32_e32 v51, v5, v51
	v_add_f32_e32 v37, v4, v37
	;; [unrolled: 1-line block ×4, first 2 shown]
	v_fmac_f32_e32 v88, 0x3f3d2fb0, v13
	v_mul_f32_e32 v85, 0xbf65296c, v85
	v_add_f32_e32 v51, v51, v52
	v_add_f32_e32 v37, v37, v38
	v_add_f32_e32 v92, v93, v92
	v_mul_f32_e32 v93, 0xbe8c1d8e, v33
	v_add_f32_e32 v86, v88, v86
	v_mov_b32_e32 v88, v85
	v_add_f32_e32 v51, v51, v53
	v_add_f32_e32 v37, v37, v67
	;; [unrolled: 1-line block ×3, first 2 shown]
	v_fmac_f32_e32 v88, 0x3ee437d1, v16
	v_add_f32_e32 v51, v51, v54
	v_add_f32_e32 v22, v37, v22
	;; [unrolled: 1-line block ×3, first 2 shown]
	v_mul_f32_e32 v93, 0x3ee437d1, v77
	v_add_f32_e32 v86, v88, v86
	v_mul_f32_e32 v88, 0xbf7ee86f, v89
	v_add_f32_e32 v51, v51, v55
	v_add_f32_e32 v22, v22, v23
	;; [unrolled: 1-line block ×3, first 2 shown]
	v_mov_b32_e32 v89, v88
	v_add_f32_e32 v51, v51, v56
	v_add_f32_e32 v22, v22, v35
	;; [unrolled: 1-line block ×3, first 2 shown]
	v_mul_f32_e32 v93, 0x3f6eb680, v78
	v_fmac_f32_e32 v89, 0x3dbcf732, v18
	v_add_f32_e32 v51, v51, v57
	v_add_f32_e32 v22, v22, v36
	;; [unrolled: 1-line block ×4, first 2 shown]
	v_mul_f32_e32 v89, 0xbf763a35, v95
	v_add_f32_e32 v51, v51, v58
	v_add_f32_e32 v22, v22, v68
	;; [unrolled: 1-line block ×3, first 2 shown]
	v_mov_b32_e32 v93, v89
	v_add_f32_e32 v51, v51, v59
	v_add_f32_e32 v22, v22, v69
	v_fmac_f32_e32 v93, 0xbe8c1d8e, v20
	v_add_f32_e32 v51, v51, v60
	v_add_f32_e32 v22, v22, v70
	;; [unrolled: 1-line block ×3, first 2 shown]
	v_mul_f32_e32 v93, 0xbf4c4adb, v98
	v_add_f32_e32 v51, v51, v62
	v_add_f32_e32 v22, v22, v71
	v_mov_b32_e32 v94, v93
	v_add_f32_e32 v51, v51, v63
	v_add_f32_e32 v22, v22, v72
	v_fmac_f32_e32 v94, 0xbf1a4643, v33
	v_add_f32_e32 v51, v51, v64
	v_add_f32_e32 v22, v22, v73
	;; [unrolled: 1-line block ×3, first 2 shown]
	v_mul_f32_e32 v94, 0xbf06c442, v103
	v_add_f32_e32 v51, v51, v65
	v_add_f32_e32 v22, v22, v74
	v_mov_b32_e32 v95, v94
	v_add_f32_e32 v51, v51, v66
	v_add_f32_e32 v22, v22, v34
	v_fma_f32 v34, v12, s15, -v157
	v_fma_f32 v36, v12, s14, -v145
	;; [unrolled: 1-line block ×3, first 2 shown]
	v_fmac_f32_e32 v95, 0xbf59a7d5, v77
	v_add_f32_e32 v23, v51, v61
	v_add_f32_e32 v34, v5, v34
	v_fma_f32 v35, v13, s19, -v158
	v_add_f32_e32 v36, v5, v36
	v_fma_f32 v37, v13, s17, -v146
	v_add_f32_e32 v38, v5, v38
	v_fma_f32 v51, v13, s15, -v134
	v_add_f32_e32 v86, v95, v86
	v_mul_f32_e32 v95, 0xbeb8f4ab, v79
	v_add_f32_e32 v34, v35, v34
	v_fma_f32 v35, v16, s16, -v159
	v_add_f32_e32 v36, v37, v36
	v_fma_f32 v37, v16, s19, -v147
	;; [unrolled: 2-line block ×3, first 2 shown]
	v_fma_f32 v79, v10, s19, -v95
	v_mul_f32_e32 v97, 0xbf2c7751, v80
	v_add_f32_e32 v34, v35, v34
	v_fma_f32 v35, v18, s8, -v160
	v_add_f32_e32 v36, v37, v36
	v_fma_f32 v37, v18, s16, -v148
	;; [unrolled: 2-line block ×4, first 2 shown]
	v_mul_f32_e32 v82, 0xbf65296c, v82
	v_add_f32_e32 v34, v35, v34
	v_fma_f32 v35, v20, s14, -v161
	v_add_f32_e32 v36, v37, v36
	v_fma_f32 v37, v20, s9, -v149
	;; [unrolled: 2-line block ×3, first 2 shown]
	v_add_f32_e32 v119, v120, v119
	v_mul_f32_e32 v120, 0xbe8c1d8e, v18
	v_add_f32_e32 v79, v80, v79
	v_fma_f32 v80, v14, s18, -v82
	v_mul_f32_e32 v84, 0xbf7ee86f, v84
	v_add_f32_e32 v34, v35, v34
	v_fma_f32 v35, v33, s18, -v162
	v_add_f32_e32 v36, v37, v36
	v_fma_f32 v37, v33, s8, -v150
	;; [unrolled: 2-line block ×3, first 2 shown]
	v_add_f32_e32 v120, v122, v120
	v_add_f32_e32 v79, v80, v79
	v_fma_f32 v80, v15, s9, -v84
	v_mul_f32_e32 v87, 0xbf763a35, v87
	v_add_f32_e32 v34, v35, v34
	v_fma_f32 v35, v77, s17, -v163
	v_add_f32_e32 v36, v37, v36
	v_fma_f32 v37, v77, s15, -v151
	;; [unrolled: 2-line block ×3, first 2 shown]
	v_add_f32_e32 v119, v120, v119
	v_mul_f32_e32 v120, 0x3f3d2fb0, v20
	v_add_f32_e32 v79, v80, v79
	v_fma_f32 v80, v17, s17, -v87
	v_mul_f32_e32 v90, 0xbf4c4adb, v90
	v_add_f32_e32 v34, v35, v34
	v_fma_f32 v35, v78, s9, -v172
	v_fmac_f32_e32 v164, 0xbf7ba420, v10
	v_add_f32_e32 v36, v37, v36
	v_fma_f32 v37, v78, s18, -v176
	v_fmac_f32_e32 v152, 0xbf1a4643, v10
	;; [unrolled: 3-line block ×3, first 2 shown]
	v_fma_f32 v12, v12, s19, -v81
	v_fmac_f32_e32 v95, 0x3f6eb680, v10
	v_add_f32_e32 v120, v123, v120
	v_add_f32_e32 v79, v80, v79
	v_fma_f32 v80, v19, s14, -v90
	v_mul_f32_e32 v96, 0xbf06c442, v96
	v_add_f32_e32 v35, v35, v34
	v_add_f32_e32 v34, v4, v164
	v_fmac_f32_e32 v165, 0x3f6eb680, v11
	v_add_f32_e32 v37, v37, v36
	v_add_f32_e32 v36, v4, v152
	v_fmac_f32_e32 v153, 0xbe8c1d8e, v11
	;; [unrolled: 3-line block ×3, first 2 shown]
	v_add_f32_e32 v5, v5, v12
	v_fma_f32 v12, v13, s8, -v83
	v_add_f32_e32 v4, v4, v95
	v_fmac_f32_e32 v97, 0x3f3d2fb0, v11
	v_add_f32_e32 v119, v120, v119
	v_mul_f32_e32 v120, 0x3f6eb680, v33
	v_add_f32_e32 v79, v80, v79
	v_fma_f32 v80, v21, s16, -v96
	v_mul_f32_e32 v98, 0xbe3c28d5, v101
	v_add_f32_e32 v34, v165, v34
	v_fmac_f32_e32 v166, 0xbf59a7d5, v14
	v_add_f32_e32 v36, v153, v36
	v_fmac_f32_e32 v154, 0x3f6eb680, v14
	;; [unrolled: 2-line block ×3, first 2 shown]
	v_add_f32_e32 v5, v12, v5
	v_fma_f32 v12, v16, s18, -v85
	v_add_f32_e32 v4, v97, v4
	v_fmac_f32_e32 v82, 0x3ee437d1, v14
	v_add_f32_e32 v120, v124, v120
	v_add_f32_e32 v79, v80, v79
	v_mov_b32_e32 v80, v98
	v_add_f32_e32 v34, v166, v34
	v_fmac_f32_e32 v167, 0x3f3d2fb0, v15
	v_add_f32_e32 v36, v154, v36
	v_fmac_f32_e32 v155, 0xbf59a7d5, v15
	;; [unrolled: 2-line block ×3, first 2 shown]
	v_add_f32_e32 v5, v12, v5
	v_fma_f32 v12, v18, s9, -v88
	v_add_f32_e32 v4, v82, v4
	v_fmac_f32_e32 v84, 0x3dbcf732, v15
	v_lshrrev_b32_e32 v10, 1, v28
	v_add_f32_e32 v119, v120, v119
	v_mul_f32_e32 v120, 0x3dbcf732, v77
	v_fmac_f32_e32 v80, 0xbf7ba420, v78
	v_add_f32_e32 v34, v167, v34
	v_fmac_f32_e32 v168, 0xbf1a4643, v17
	v_add_f32_e32 v36, v155, v36
	v_fmac_f32_e32 v156, 0x3dbcf732, v17
	v_add_f32_e32 v38, v143, v38
	v_fmac_f32_e32 v144, 0x3ee437d1, v17
	v_add_f32_e32 v5, v12, v5
	v_fma_f32 v12, v20, s17, -v89
	v_add_f32_e32 v4, v84, v4
	v_fmac_f32_e32 v87, 0xbe8c1d8e, v17
	v_mul_u32_u24_e32 v10, 34, v10
	v_add_f32_e32 v120, v125, v120
	v_add_f32_e32 v80, v80, v86
	v_mul_f32_e32 v86, 0xbe3c28d5, v99
	v_add_f32_e32 v34, v168, v34
	v_fmac_f32_e32 v169, 0x3ee437d1, v19
	v_add_f32_e32 v36, v156, v36
	v_fmac_f32_e32 v171, 0x3f3d2fb0, v19
	;; [unrolled: 2-line block ×3, first 2 shown]
	v_add_f32_e32 v5, v12, v5
	v_fma_f32 v12, v33, s14, -v93
	v_add_f32_e32 v4, v87, v4
	v_fmac_f32_e32 v90, 0xbf1a4643, v19
	v_or_b32_e32 v10, v10, v39
	v_add_f32_e32 v119, v120, v119
	v_mul_f32_e32 v120, 0xbf59a7d5, v78
	v_fma_f32 v99, v76, s15, -v86
	v_add_f32_e32 v34, v169, v34
	v_fmac_f32_e32 v170, 0xbe8c1d8e, v21
	v_add_f32_e32 v36, v171, v36
	v_fmac_f32_e32 v174, 0xbf7ba420, v21
	;; [unrolled: 2-line block ×3, first 2 shown]
	v_add_f32_e32 v5, v12, v5
	v_fma_f32 v12, v77, s16, -v94
	v_add_f32_e32 v4, v90, v4
	v_fmac_f32_e32 v96, 0xbf59a7d5, v21
	v_lshlrev_b32_e32 v10, 3, v10
	v_add_f32_e32 v120, v126, v120
	v_add_f32_e32 v79, v99, v79
	;; [unrolled: 1-line block ×4, first 2 shown]
	v_fmac_f32_e32 v173, 0x3dbcf732, v76
	v_add_f32_e32 v36, v174, v36
	v_fmac_f32_e32 v177, 0x3ee437d1, v76
	v_add_f32_e32 v38, v178, v38
	;; [unrolled: 2-line block ×3, first 2 shown]
	v_fma_f32 v12, v78, s15, -v98
	v_add_f32_e32 v4, v96, v4
	v_fmac_f32_e32 v86, 0xbf7ba420, v76
	v_add3_u32 v10, 0, v10, v41
	v_add_f32_e32 v112, v120, v119
	v_add_f32_e32 v34, v173, v34
	;; [unrolled: 1-line block ×6, first 2 shown]
	ds_write2_b64 v10, v[22:23], v[79:80] offset1:2
	ds_write2_b64 v10, v[91:92], v[111:112] offset0:4 offset1:6
	ds_write2_b64 v10, v[131:132], v[129:130] offset0:8 offset1:10
	;; [unrolled: 1-line block ×7, first 2 shown]
	ds_write_b64 v10, v[4:5] offset:256
.LBB0_26:
	s_or_b64 exec, exec, s[6:7]
	v_add_u32_e32 v0, 0xc00, v43
	v_add_u32_e32 v4, 0x1000, v43
	;; [unrolled: 1-line block ×3, first 2 shown]
	s_waitcnt lgkmcnt(0)
	s_barrier
	ds_read2_b64 v[12:15], v0 offset0:126 offset1:194
	ds_read2_b64 v[0:3], v43 offset0:68 offset1:136
	;; [unrolled: 1-line block ×3, first 2 shown]
	v_add_u32_e32 v4, 0x400, v43
	ds_read2_b64 v[20:23], v8 offset0:14 offset1:82
	v_add_u32_e32 v8, 0x800, v43
	ds_read2_b64 v[4:7], v4 offset0:76 offset1:144
	ds_read2_b64 v[8:11], v8 offset0:84 offset1:152
	ds_read_b64 v[36:37], v42
	ds_read_b64 v[38:39], v43 offset:7344
	s_and_saveexec_b64 s[2:3], vcc
	s_cbranch_execz .LBB0_28
; %bb.27:
	ds_read_b64 v[31:32], v43 offset:3808
	ds_read_b64 v[29:30], v43 offset:7888
.LBB0_28:
	s_or_b64 exec, exec, s[2:3]
	v_subrev_u32_e32 v33, 34, v28
	v_cndmask_b32_e32 v33, v33, v28, vcc
	v_mov_b32_e32 v34, 0
	v_lshlrev_b64 v[51:52], 3, v[33:34]
	v_mov_b32_e32 v35, s13
	v_add_co_u32_e64 v53, s[2:3], s12, v51
	v_addc_co_u32_e64 v54, s[2:3], v35, v52, s[2:3]
	s_movk_i32 s2, 0xf1
	v_mul_lo_u16_sdwa v35, v45, s2 dst_sel:DWORD dst_unused:UNUSED_PAD src0_sel:BYTE_0 src1_sel:DWORD
	v_lshrrev_b16_e32 v67, 13, v35
	v_mul_lo_u16_e32 v35, 34, v67
	v_sub_u16_e32 v35, v45, v35
	v_mov_b32_e32 v51, 3
	v_lshlrev_b32_sdwa v68, v51, v35 dst_sel:DWORD dst_unused:UNUSED_PAD src0_sel:DWORD src1_sel:BYTE_0
	v_mul_lo_u16_sdwa v35, v44, s2 dst_sel:DWORD dst_unused:UNUSED_PAD src0_sel:BYTE_0 src1_sel:DWORD
	v_lshrrev_b16_e32 v69, 13, v35
	s_mov_b32 s6, 0xf0f1
	v_mul_lo_u16_e32 v35, 34, v69
	v_mul_u32_u24_sdwa v52, v47, s6 dst_sel:DWORD dst_unused:UNUSED_PAD src0_sel:WORD_0 src1_sel:DWORD
	v_sub_u16_e32 v35, v44, v35
	v_lshrrev_b32_e32 v71, 21, v52
	v_lshlrev_b32_sdwa v70, v51, v35 dst_sel:DWORD dst_unused:UNUSED_PAD src0_sel:DWORD src1_sel:BYTE_0
	v_mul_lo_u16_e32 v35, 34, v71
	v_sub_u16_e32 v35, v47, v35
	v_lshlrev_b32_e32 v72, 3, v35
	global_load_dwordx2 v[55:56], v[53:54], off offset:256
	global_load_dwordx2 v[57:58], v68, s[12:13] offset:256
	global_load_dwordx2 v[59:60], v70, s[12:13] offset:256
	;; [unrolled: 1-line block ×3, first 2 shown]
	v_mul_u32_u24_sdwa v53, v46, s6 dst_sel:DWORD dst_unused:UNUSED_PAD src0_sel:WORD_0 src1_sel:DWORD
	v_lshrrev_b32_e32 v54, 21, v53
	v_mul_lo_u16_e32 v35, 34, v54
	v_sub_u16_e32 v35, v46, v35
	v_lshlrev_b32_e32 v73, 3, v35
	v_mul_u32_u24_sdwa v35, v50, s6 dst_sel:DWORD dst_unused:UNUSED_PAD src0_sel:WORD_0 src1_sel:DWORD
	v_lshrrev_b32_e32 v74, 21, v35
	v_mul_lo_u16_e32 v35, 34, v74
	v_sub_u16_e32 v35, v50, v35
	v_lshlrev_b32_e32 v75, 3, v35
	v_mul_u32_u24_sdwa v35, v49, s6 dst_sel:DWORD dst_unused:UNUSED_PAD src0_sel:WORD_0 src1_sel:DWORD
	v_lshrrev_b32_e32 v76, 21, v35
	v_mul_lo_u16_e32 v35, 34, v76
	global_load_dwordx2 v[63:64], v73, s[12:13] offset:256
	v_sub_u16_e32 v35, v49, v35
	global_load_dwordx2 v[49:50], v75, s[12:13] offset:256
	v_lshlrev_b32_e32 v77, 3, v35
	global_load_dwordx2 v[65:66], v77, s[12:13] offset:256
	v_cmp_lt_u32_e64 s[2:3], 33, v28
	v_lshlrev_b32_e32 v33, 3, v33
	s_movk_i32 s7, 0x220
	s_waitcnt vmcnt(0) lgkmcnt(0)
	s_barrier
	v_lshlrev_b32_e32 v35, 1, v28
	v_mul_f32_e32 v78, v56, v13
	v_mul_f32_e32 v56, v56, v12
	v_fma_f32 v12, v55, v12, -v78
	v_fmac_f32_e32 v56, v55, v13
	v_mul_f32_e32 v13, v58, v15
	v_mul_f32_e32 v55, v58, v14
	;; [unrolled: 1-line block ×5, first 2 shown]
	v_fma_f32 v82, v57, v14, -v13
	v_fmac_f32_e32 v55, v57, v15
	v_fma_f32 v57, v59, v16, -v58
	v_fma_f32 v58, v61, v18, -v78
	v_fmac_f32_e32 v62, v61, v19
	v_sub_f32_e32 v12, v36, v12
	v_sub_f32_e32 v13, v37, v56
	v_mul_f32_e32 v60, v60, v16
	v_fma_f32 v14, v36, 2.0, -v12
	v_fma_f32 v15, v37, 2.0, -v13
	v_mul_f32_e32 v80, v50, v23
	v_mul_f32_e32 v50, v50, v22
	v_fma_f32 v61, v49, v22, -v80
	v_fmac_f32_e32 v50, v49, v23
	v_mov_b32_e32 v49, 0x220
	v_cndmask_b32_e64 v49, 0, v49, s[2:3]
	v_add_u32_e32 v49, 0, v49
	v_add3_u32 v33, v49, v33, v41
	v_fmac_f32_e32 v60, v59, v17
	v_sub_f32_e32 v16, v0, v82
	v_sub_f32_e32 v17, v1, v55
	ds_write2_b64 v33, v[14:15], v[12:13] offset1:34
	v_mad_u32_u24 v12, v67, s7, 0
	v_fma_f32 v0, v0, 2.0, -v16
	v_fma_f32 v1, v1, 2.0, -v17
	v_add3_u32 v12, v12, v68, v41
	v_sub_f32_e32 v18, v2, v57
	v_sub_f32_e32 v19, v3, v60
	ds_write2_b64 v12, v[0:1], v[16:17] offset1:34
	v_mad_u32_u24 v0, v69, s7, 0
	v_mul_f32_e32 v79, v64, v21
	v_mul_f32_e32 v64, v64, v20
	v_fma_f32 v2, v2, 2.0, -v18
	v_fma_f32 v3, v3, 2.0, -v19
	v_add3_u32 v0, v0, v70, v41
	v_fma_f32 v59, v63, v20, -v79
	v_fmac_f32_e32 v64, v63, v21
	v_sub_f32_e32 v20, v4, v58
	v_sub_f32_e32 v21, v5, v62
	ds_write2_b64 v0, v[2:3], v[18:19] offset1:34
	v_mad_u32_u24 v0, v71, s7, 0
	v_fma_f32 v4, v4, 2.0, -v20
	v_fma_f32 v5, v5, 2.0, -v21
	v_add3_u32 v0, v0, v72, v41
	v_sub_f32_e32 v22, v6, v59
	v_sub_f32_e32 v23, v7, v64
	ds_write2_b64 v0, v[4:5], v[20:21] offset1:34
	v_mad_u32_u24 v0, v54, s7, 0
	v_fma_f32 v6, v6, 2.0, -v22
	v_fma_f32 v7, v7, 2.0, -v23
	v_add3_u32 v0, v0, v73, v41
	v_mul_f32_e32 v81, v66, v39
	v_mul_f32_e32 v66, v66, v38
	v_sub_f32_e32 v36, v8, v61
	v_sub_f32_e32 v37, v9, v50
	ds_write2_b64 v0, v[6:7], v[22:23] offset1:34
	v_mad_u32_u24 v0, v74, s7, 0
	v_fma_f32 v38, v65, v38, -v81
	v_fmac_f32_e32 v66, v65, v39
	v_fma_f32 v8, v8, 2.0, -v36
	v_fma_f32 v9, v9, 2.0, -v37
	v_add3_u32 v0, v0, v75, v41
	v_sub_f32_e32 v38, v10, v38
	v_sub_f32_e32 v39, v11, v66
	ds_write2_b64 v0, v[8:9], v[36:37] offset1:34
	v_mad_u32_u24 v0, v76, s7, 0
	v_fma_f32 v10, v10, 2.0, -v38
	v_fma_f32 v11, v11, 2.0, -v39
	v_add3_u32 v0, v0, v77, v41
	ds_write2_b64 v0, v[10:11], v[38:39] offset1:34
	s_and_saveexec_b64 s[2:3], vcc
	s_cbranch_execz .LBB0_30
; %bb.29:
	v_mul_u32_u24_sdwa v0, v48, s6 dst_sel:DWORD dst_unused:UNUSED_PAD src0_sel:WORD_0 src1_sel:DWORD
	v_lshrrev_b32_e32 v0, 21, v0
	v_mul_lo_u16_e32 v0, 34, v0
	v_sub_u16_e32 v0, v48, v0
	v_lshlrev_b32_e32 v2, 3, v0
	global_load_dwordx2 v[0:1], v2, s[12:13] offset:256
	v_add3_u32 v4, 0, v2, v41
	v_add_u32_e32 v4, 0x1800, v4
	s_waitcnt vmcnt(0)
	v_mul_f32_e32 v2, v29, v1
	v_mul_f32_e32 v1, v30, v1
	v_fmac_f32_e32 v2, v30, v0
	v_fma_f32 v0, v29, v0, -v1
	v_sub_f32_e32 v1, v32, v2
	v_sub_f32_e32 v0, v31, v0
	v_fma_f32 v3, v32, 2.0, -v1
	v_fma_f32 v2, v31, 2.0, -v0
	ds_write2_b64 v4, v[2:3], v[0:1] offset0:184 offset1:218
.LBB0_30:
	s_or_b64 exec, exec, s[2:3]
	v_mov_b32_e32 v36, v34
	v_lshlrev_b64 v[0:1], 3, v[35:36]
	v_mov_b32_e32 v39, s13
	v_add_co_u32_e32 v0, vcc, s12, v0
	v_addc_co_u32_e32 v1, vcc, v39, v1, vcc
	s_waitcnt lgkmcnt(0)
	s_barrier
	global_load_dwordx4 v[4:7], v[0:1], off offset:528
	v_lshrrev_b32_e32 v0, 22, v52
	v_mul_lo_u16_e32 v0, 0x44, v0
	v_sub_u16_e32 v33, v47, v0
	v_lshlrev_b32_e32 v0, 4, v33
	v_lshrrev_b32_e32 v1, 22, v53
	s_movk_i32 s2, 0x79
	global_load_dwordx4 v[8:11], v0, s[12:13] offset:528
	v_mul_lo_u16_e32 v0, 0x44, v1
	v_mul_lo_u16_sdwa v1, v44, s2 dst_sel:DWORD dst_unused:UNUSED_PAD src0_sel:BYTE_0 src1_sel:DWORD
	v_sub_u16_e32 v50, v46, v0
	v_lshrrev_b16_e32 v1, 13, v1
	v_lshlrev_b32_e32 v0, 4, v50
	v_mul_lo_u16_e32 v1, 0x44, v1
	global_load_dwordx4 v[12:15], v0, s[12:13] offset:528
	v_mov_b32_e32 v0, 4
	v_sub_u16_e32 v66, v44, v1
	v_lshlrev_b32_sdwa v0, v0, v66 dst_sel:DWORD dst_unused:UNUSED_PAD src0_sel:DWORD src1_sel:BYTE_0
	global_load_dwordx4 v[16:19], v0, s[12:13] offset:528
	v_add_u32_e32 v2, 0x800, v43
	v_add_u32_e32 v56, 0x400, v43
	ds_read_b64 v[64:65], v42
	v_add_u32_e32 v0, 0x1000, v43
	ds_read2_b64 v[20:23], v43 offset0:68 offset1:136
	v_add_u32_e32 v67, 0x1400, v43
	v_add_u32_e32 v3, 0xc00, v43
	v_add_u32_e32 v1, 0x1800, v43
	ds_read2_b64 v[29:32], v2 offset0:84 offset1:152
	ds_read2_b64 v[35:38], v0 offset0:100 offset1:168
	;; [unrolled: 1-line block ×6, first 2 shown]
	s_waitcnt vmcnt(0) lgkmcnt(0)
	s_barrier
	v_mul_f32_e32 v68, v5, v30
	v_mul_f32_e32 v70, v7, v38
	;; [unrolled: 1-line block ×12, first 2 shown]
	v_fmac_f32_e32 v73, v4, v32
	v_fmac_f32_e32 v74, v6, v47
	v_mul_f32_e32 v11, v36, v13
	v_mul_f32_e32 v77, v35, v13
	;; [unrolled: 1-line block ×4, first 2 shown]
	v_fma_f32 v15, v4, v29, -v68
	v_fma_f32 v29, v6, v37, -v70
	;; [unrolled: 1-line block ×3, first 2 shown]
	v_add_f32_e32 v7, v15, v29
	v_fmac_f32_e32 v69, v4, v30
	v_fmac_f32_e32 v71, v6, v38
	v_fma_f32 v30, v4, v31, -v72
	v_fma_f32 v31, v6, v46, -v5
	;; [unrolled: 1-line block ×3, first 2 shown]
	v_mul_f32_e32 v4, v53, v17
	v_mul_f32_e32 v5, v49, v19
	v_add_f32_e32 v6, v64, v15
	v_fma_f32 v64, -0.5, v7, v64
	v_add_f32_e32 v11, v73, v74
	v_fmac_f32_e32 v75, v55, v8
	v_sub_f32_e32 v8, v69, v71
	v_fma_f32 v35, v52, v16, -v4
	v_fma_f32 v46, v48, v18, -v5
	v_add_f32_e32 v4, v6, v29
	v_mov_b32_e32 v6, v64
	v_fma_f32 v11, -0.5, v11, v21
	v_fma_f32 v37, v60, v10, -v9
	v_fmac_f32_e32 v77, v36, v12
	v_fma_f32 v36, v62, v14, -v13
	v_fmac_f32_e32 v78, v63, v14
	v_mul_f32_e32 v17, v52, v17
	v_mul_f32_e32 v19, v48, v19
	v_fmac_f32_e32 v6, 0x3f5db3d7, v8
	v_fmac_f32_e32 v64, 0xbf5db3d7, v8
	v_add_f32_e32 v7, v69, v71
	v_sub_f32_e32 v8, v15, v29
	v_add_f32_e32 v9, v30, v31
	v_sub_f32_e32 v14, v30, v31
	v_mov_b32_e32 v13, v11
	v_add_f32_e32 v15, v35, v46
	v_fmac_f32_e32 v76, v61, v10
	v_fmac_f32_e32 v17, v53, v16
	;; [unrolled: 1-line block ×3, first 2 shown]
	v_add_f32_e32 v5, v65, v69
	v_fmac_f32_e32 v65, -0.5, v7
	v_fma_f32 v10, -0.5, v9, v20
	v_fmac_f32_e32 v13, 0xbf5db3d7, v14
	v_fmac_f32_e32 v11, 0x3f5db3d7, v14
	v_add_f32_e32 v14, v22, v35
	v_fma_f32 v22, -0.5, v15, v22
	v_mov_b32_e32 v7, v65
	v_sub_f32_e32 v9, v73, v74
	v_mov_b32_e32 v12, v10
	v_sub_f32_e32 v15, v17, v19
	v_mov_b32_e32 v16, v22
	v_add_f32_e32 v5, v5, v71
	v_fmac_f32_e32 v7, 0xbf5db3d7, v8
	v_fmac_f32_e32 v65, 0x3f5db3d7, v8
	v_add_f32_e32 v8, v20, v30
	v_fmac_f32_e32 v12, 0x3f5db3d7, v9
	v_fmac_f32_e32 v10, 0xbf5db3d7, v9
	;; [unrolled: 3-line block ×3, first 2 shown]
	v_add_f32_e32 v15, v23, v17
	v_add_f32_e32 v17, v17, v19
	;; [unrolled: 1-line block ×4, first 2 shown]
	v_fmac_f32_e32 v23, -0.5, v17
	ds_write2_b64 v43, v[4:5], v[6:7] offset1:68
	ds_write2_b64 v43, v[64:65], v[8:9] offset0:136 offset1:204
	ds_write2_b64 v2, v[12:13], v[10:11] offset0:16 offset1:84
	v_lshlrev_b32_sdwa v4, v51, v66 dst_sel:DWORD dst_unused:UNUSED_PAD src0_sel:DWORD src1_sel:BYTE_0
	v_add_f32_e32 v15, v15, v19
	v_sub_f32_e32 v18, v35, v46
	v_mov_b32_e32 v17, v23
	v_add_f32_e32 v19, v32, v37
	v_add_f32_e32 v21, v75, v76
	v_add3_u32 v4, 0, v4, v41
	v_add_f32_e32 v14, v14, v46
	v_fmac_f32_e32 v17, 0xbf5db3d7, v18
	v_fma_f32 v20, -0.5, v19, v56
	v_fma_f32 v21, -0.5, v21, v57
	v_add_u32_e32 v5, 0x800, v4
	v_fmac_f32_e32 v23, 0x3f5db3d7, v18
	v_add_f32_e32 v18, v56, v32
	v_sub_f32_e32 v19, v75, v76
	v_mov_b32_e32 v29, v20
	v_sub_f32_e32 v31, v32, v37
	v_mov_b32_e32 v30, v21
	v_add_f32_e32 v32, v38, v36
	ds_write2_b64 v5, v[14:15], v[16:17] offset0:152 offset1:220
	ds_write_b64 v4, v[22:23] offset:4352
	v_lshlrev_b32_e32 v4, 3, v33
	v_fmac_f32_e32 v29, 0x3f5db3d7, v19
	v_fmac_f32_e32 v20, 0xbf5db3d7, v19
	v_add_f32_e32 v19, v57, v75
	v_fmac_f32_e32 v30, 0xbf5db3d7, v31
	v_fmac_f32_e32 v21, 0x3f5db3d7, v31
	v_add_f32_e32 v31, v58, v38
	v_fma_f32 v58, -0.5, v32, v58
	v_add3_u32 v4, 0, v4, v41
	v_add_f32_e32 v18, v18, v37
	v_add_f32_e32 v19, v19, v76
	v_sub_f32_e32 v32, v77, v78
	v_mov_b32_e32 v35, v58
	v_add_f32_e32 v37, v77, v78
	v_add_u32_e32 v5, 0x1000, v4
	v_fmac_f32_e32 v35, 0x3f5db3d7, v32
	v_fmac_f32_e32 v58, 0xbf5db3d7, v32
	v_add_f32_e32 v32, v59, v77
	v_fmac_f32_e32 v59, -0.5, v37
	ds_write2_b64 v5, v[18:19], v[29:30] offset0:100 offset1:168
	ds_write_b64 v4, v[20:21] offset:5984
	v_lshlrev_b32_e32 v4, 3, v50
	v_add_f32_e32 v31, v31, v36
	v_sub_f32_e32 v37, v38, v36
	v_mov_b32_e32 v36, v59
	v_add3_u32 v4, 0, v4, v41
	v_add_f32_e32 v32, v32, v78
	v_fmac_f32_e32 v36, 0xbf5db3d7, v37
	v_add_u32_e32 v5, 0x1800, v4
	v_lshlrev_b32_e32 v33, 2, v28
	v_fmac_f32_e32 v59, 0x3f5db3d7, v37
	ds_write2_b64 v5, v[31:32], v[35:36] offset0:48 offset1:116
	ds_write_b64 v4, v[58:59] offset:7616
	v_lshlrev_b64 v[4:5], 3, v[33:34]
	s_waitcnt lgkmcnt(0)
	v_add_co_u32_e32 v12, vcc, s12, v4
	v_addc_co_u32_e32 v13, vcc, v39, v5, vcc
	s_barrier
	global_load_dwordx4 v[4:7], v[12:13], off offset:1616
	global_load_dwordx4 v[8:11], v[12:13], off offset:1632
	v_lshlrev_b32_e32 v33, 2, v45
	v_lshlrev_b64 v[12:13], 3, v[33:34]
	v_lshlrev_b32_e32 v33, 2, v44
	v_add_co_u32_e32 v20, vcc, s12, v12
	v_addc_co_u32_e32 v21, vcc, v39, v13, vcc
	global_load_dwordx4 v[12:15], v[20:21], off offset:1616
	global_load_dwordx4 v[16:19], v[20:21], off offset:1632
	v_lshlrev_b64 v[20:21], 3, v[33:34]
	v_add_co_u32_e32 v33, vcc, s12, v20
	v_addc_co_u32_e32 v34, vcc, v39, v21, vcc
	global_load_dwordx4 v[20:23], v[33:34], off offset:1616
	global_load_dwordx4 v[29:32], v[33:34], off offset:1632
	ds_read_b64 v[37:38], v42
	ds_read_b64 v[41:42], v43 offset:1632
	ds_read2_b64 v[33:36], v2 offset0:84 offset1:152
	ds_read2_b64 v[44:47], v0 offset0:100 offset1:168
	;; [unrolled: 1-line block ×4, first 2 shown]
	ds_read2_b32 v[64:65], v2 offset0:32 offset1:33
	ds_read2_b64 v[56:59], v3 offset0:92 offset1:160
	ds_read2_b64 v[60:63], v1 offset0:116 offset1:184
	s_waitcnt vmcnt(0) lgkmcnt(0)
	s_barrier
	v_mul_f32_e32 v39, v5, v42
	v_fma_f32 v39, v4, v41, -v39
	v_mul_f32_e32 v41, v5, v41
	v_fmac_f32_e32 v41, v4, v42
	v_mul_f32_e32 v4, v7, v36
	v_fma_f32 v42, v6, v35, -v4
	v_mul_f32_e32 v35, v7, v35
	v_mul_f32_e32 v4, v9, v45
	v_fmac_f32_e32 v35, v6, v36
	v_fma_f32 v36, v8, v44, -v4
	v_mul_f32_e32 v4, v11, v51
	v_mul_f32_e32 v44, v9, v44
	v_fma_f32 v9, v10, v50, -v4
	v_mul_f32_e32 v4, v65, v13
	v_fmac_f32_e32 v44, v8, v45
	v_mul_f32_e32 v45, v11, v50
	v_fma_f32 v50, v12, v64, -v4
	v_mul_f32_e32 v4, v57, v15
	v_fmac_f32_e32 v45, v10, v51
	v_mul_f32_e32 v51, v13, v64
	v_fma_f32 v64, v56, v14, -v4
	v_mul_f32_e32 v56, v56, v15
	v_mul_f32_e32 v4, v47, v17
	v_add_f32_e32 v5, v42, v36
	v_fmac_f32_e32 v56, v57, v14
	v_fma_f32 v57, v46, v16, -v4
	v_mul_f32_e32 v46, v46, v17
	v_mul_f32_e32 v4, v61, v19
	v_fma_f32 v6, -0.5, v5, v37
	v_fmac_f32_e32 v46, v47, v16
	v_fma_f32 v17, v60, v18, -v4
	v_mul_f32_e32 v47, v60, v19
	v_mul_f32_e32 v4, v34, v21
	v_sub_f32_e32 v5, v41, v45
	v_mov_b32_e32 v8, v6
	v_fmac_f32_e32 v47, v61, v18
	v_fma_f32 v60, v33, v20, -v4
	v_mul_f32_e32 v61, v33, v21
	v_mul_f32_e32 v4, v59, v23
	v_fmac_f32_e32 v8, 0x3f737871, v5
	v_sub_f32_e32 v7, v35, v44
	v_sub_f32_e32 v10, v39, v42
	;; [unrolled: 1-line block ×3, first 2 shown]
	v_fmac_f32_e32 v6, 0xbf737871, v5
	v_fmac_f32_e32 v61, v34, v20
	v_fma_f32 v34, v58, v22, -v4
	v_mul_f32_e32 v58, v58, v23
	v_mul_f32_e32 v4, v49, v30
	v_fmac_f32_e32 v8, 0x3f167918, v7
	v_add_f32_e32 v10, v10, v11
	v_fmac_f32_e32 v6, 0xbf167918, v7
	v_fmac_f32_e32 v58, v59, v22
	v_fma_f32 v59, v48, v29, -v4
	v_mul_f32_e32 v48, v48, v30
	v_mul_f32_e32 v4, v63, v32
	v_fmac_f32_e32 v8, 0x3e9e377a, v10
	v_fmac_f32_e32 v6, 0x3e9e377a, v10
	v_add_f32_e32 v10, v39, v9
	v_fmac_f32_e32 v48, v49, v29
	v_fma_f32 v49, v62, v31, -v4
	v_add_f32_e32 v4, v37, v39
	v_fma_f32 v37, -0.5, v10, v37
	v_mov_b32_e32 v10, v37
	v_add_f32_e32 v4, v4, v42
	v_fmac_f32_e32 v10, 0xbf737871, v7
	v_fmac_f32_e32 v37, 0x3f737871, v7
	v_add_f32_e32 v7, v35, v44
	v_fmac_f32_e32 v51, v65, v12
	v_add_f32_e32 v4, v4, v36
	v_sub_f32_e32 v11, v42, v39
	v_sub_f32_e32 v12, v36, v9
	v_fma_f32 v7, -0.5, v7, v38
	v_add_f32_e32 v4, v4, v9
	v_fmac_f32_e32 v10, 0x3f167918, v5
	v_add_f32_e32 v11, v11, v12
	v_fmac_f32_e32 v37, 0xbf167918, v5
	v_sub_f32_e32 v12, v39, v9
	v_mov_b32_e32 v9, v7
	v_fmac_f32_e32 v10, 0x3e9e377a, v11
	v_fmac_f32_e32 v37, 0x3e9e377a, v11
	;; [unrolled: 1-line block ×3, first 2 shown]
	v_sub_f32_e32 v13, v42, v36
	v_sub_f32_e32 v11, v41, v35
	;; [unrolled: 1-line block ×3, first 2 shown]
	v_fmac_f32_e32 v7, 0x3f737871, v12
	v_fmac_f32_e32 v9, 0xbf167918, v13
	v_add_f32_e32 v11, v11, v14
	v_fmac_f32_e32 v7, 0x3f167918, v13
	v_fmac_f32_e32 v9, 0x3e9e377a, v11
	;; [unrolled: 1-line block ×3, first 2 shown]
	v_add_f32_e32 v11, v41, v45
	v_add_f32_e32 v5, v38, v41
	v_fmac_f32_e32 v38, -0.5, v11
	v_mov_b32_e32 v11, v38
	v_fmac_f32_e32 v11, 0x3f737871, v13
	v_sub_f32_e32 v14, v35, v41
	v_sub_f32_e32 v15, v44, v45
	v_fmac_f32_e32 v38, 0xbf737871, v13
	v_fmac_f32_e32 v11, 0xbf167918, v12
	v_add_f32_e32 v14, v14, v15
	v_fmac_f32_e32 v38, 0x3f167918, v12
	v_add_f32_e32 v13, v64, v57
	v_fmac_f32_e32 v11, 0x3e9e377a, v14
	v_fmac_f32_e32 v38, 0x3e9e377a, v14
	v_fma_f32 v14, -0.5, v13, v52
	v_sub_f32_e32 v13, v51, v47
	v_mov_b32_e32 v16, v14
	v_fmac_f32_e32 v16, 0x3f737871, v13
	v_sub_f32_e32 v15, v56, v46
	v_sub_f32_e32 v18, v50, v64
	;; [unrolled: 1-line block ×3, first 2 shown]
	v_fmac_f32_e32 v14, 0xbf737871, v13
	v_fmac_f32_e32 v16, 0x3f167918, v15
	v_add_f32_e32 v18, v18, v19
	v_fmac_f32_e32 v14, 0xbf167918, v15
	v_fmac_f32_e32 v16, 0x3e9e377a, v18
	;; [unrolled: 1-line block ×3, first 2 shown]
	v_add_f32_e32 v18, v50, v17
	v_fma_f32 v18, -0.5, v18, v52
	v_add_f32_e32 v12, v52, v50
	v_mov_b32_e32 v20, v18
	v_add_f32_e32 v12, v12, v64
	v_fmac_f32_e32 v20, 0xbf737871, v15
	v_fmac_f32_e32 v18, 0x3f737871, v15
	v_add_f32_e32 v15, v56, v46
	v_add_f32_e32 v12, v12, v57
	v_sub_f32_e32 v19, v64, v50
	v_sub_f32_e32 v21, v57, v17
	v_fma_f32 v15, -0.5, v15, v53
	v_add_f32_e32 v12, v12, v17
	v_fmac_f32_e32 v20, 0x3f167918, v13
	v_add_f32_e32 v19, v19, v21
	v_fmac_f32_e32 v18, 0xbf167918, v13
	v_sub_f32_e32 v22, v50, v17
	v_mov_b32_e32 v17, v15
	v_fmac_f32_e32 v20, 0x3e9e377a, v19
	v_fmac_f32_e32 v18, 0x3e9e377a, v19
	;; [unrolled: 1-line block ×3, first 2 shown]
	v_sub_f32_e32 v23, v64, v57
	v_sub_f32_e32 v19, v51, v56
	;; [unrolled: 1-line block ×3, first 2 shown]
	v_fmac_f32_e32 v15, 0x3f737871, v22
	v_fmac_f32_e32 v17, 0xbf167918, v23
	v_add_f32_e32 v19, v19, v21
	v_fmac_f32_e32 v15, 0x3f167918, v23
	v_fmac_f32_e32 v17, 0x3e9e377a, v19
	v_fmac_f32_e32 v15, 0x3e9e377a, v19
	v_add_f32_e32 v19, v51, v47
	v_fma_f32 v19, -0.5, v19, v53
	v_mov_b32_e32 v21, v19
	v_fmac_f32_e32 v21, 0x3f737871, v23
	v_sub_f32_e32 v29, v56, v51
	v_sub_f32_e32 v30, v46, v47
	v_fmac_f32_e32 v19, 0xbf737871, v23
	v_mul_f32_e32 v62, v62, v32
	v_fmac_f32_e32 v21, 0xbf167918, v22
	v_add_f32_e32 v29, v29, v30
	v_fmac_f32_e32 v19, 0x3f167918, v22
	v_add_f32_e32 v23, v34, v59
	v_fmac_f32_e32 v62, v63, v31
	v_fmac_f32_e32 v21, 0x3e9e377a, v29
	;; [unrolled: 1-line block ×3, first 2 shown]
	v_fma_f32 v29, -0.5, v23, v54
	v_sub_f32_e32 v23, v61, v62
	v_mov_b32_e32 v31, v29
	v_fmac_f32_e32 v31, 0x3f737871, v23
	v_sub_f32_e32 v30, v58, v48
	v_sub_f32_e32 v32, v60, v34
	;; [unrolled: 1-line block ×3, first 2 shown]
	v_fmac_f32_e32 v29, 0xbf737871, v23
	v_fmac_f32_e32 v31, 0x3f167918, v30
	v_add_f32_e32 v32, v32, v33
	v_fmac_f32_e32 v29, 0xbf167918, v30
	v_fmac_f32_e32 v31, 0x3e9e377a, v32
	v_fmac_f32_e32 v29, 0x3e9e377a, v32
	v_add_f32_e32 v32, v60, v49
	v_add_f32_e32 v22, v54, v60
	v_fma_f32 v54, -0.5, v32, v54
	v_mov_b32_e32 v33, v54
	v_add_f32_e32 v5, v5, v35
	v_fmac_f32_e32 v33, 0xbf737871, v30
	v_sub_f32_e32 v32, v34, v60
	v_sub_f32_e32 v35, v59, v49
	v_fmac_f32_e32 v54, 0x3f737871, v30
	v_add_f32_e32 v30, v58, v48
	v_fmac_f32_e32 v33, 0x3f167918, v23
	v_add_f32_e32 v32, v32, v35
	v_fmac_f32_e32 v54, 0xbf167918, v23
	v_fma_f32 v30, -0.5, v30, v55
	v_fmac_f32_e32 v33, 0x3e9e377a, v32
	v_fmac_f32_e32 v54, 0x3e9e377a, v32
	v_sub_f32_e32 v35, v60, v49
	v_mov_b32_e32 v32, v30
	v_add_f32_e32 v22, v22, v34
	v_fmac_f32_e32 v32, 0xbf737871, v35
	v_sub_f32_e32 v36, v34, v59
	v_sub_f32_e32 v34, v61, v58
	;; [unrolled: 1-line block ×3, first 2 shown]
	v_fmac_f32_e32 v30, 0x3f737871, v35
	v_fmac_f32_e32 v32, 0xbf167918, v36
	v_add_f32_e32 v34, v34, v39
	v_fmac_f32_e32 v30, 0x3f167918, v36
	v_fmac_f32_e32 v32, 0x3e9e377a, v34
	;; [unrolled: 1-line block ×3, first 2 shown]
	v_add_f32_e32 v34, v61, v62
	v_add_f32_e32 v23, v55, v61
	v_fmac_f32_e32 v55, -0.5, v34
	v_add_f32_e32 v13, v53, v51
	v_mov_b32_e32 v34, v55
	v_add_f32_e32 v13, v13, v56
	v_add_f32_e32 v23, v23, v58
	v_fmac_f32_e32 v34, 0x3f737871, v36
	v_sub_f32_e32 v39, v58, v61
	v_sub_f32_e32 v41, v48, v62
	v_fmac_f32_e32 v55, 0xbf737871, v36
	v_add_f32_e32 v5, v5, v44
	v_add_f32_e32 v13, v13, v46
	;; [unrolled: 1-line block ×4, first 2 shown]
	v_fmac_f32_e32 v34, 0xbf167918, v35
	v_add_f32_e32 v39, v39, v41
	v_fmac_f32_e32 v55, 0x3f167918, v35
	v_add_f32_e32 v5, v5, v45
	v_add_f32_e32 v13, v13, v47
	;; [unrolled: 1-line block ×4, first 2 shown]
	v_fmac_f32_e32 v34, 0x3e9e377a, v39
	v_fmac_f32_e32 v55, 0x3e9e377a, v39
	ds_write2_b64 v3, v[10:11], v[37:38] offset0:24 offset1:228
	ds_write_b64 v43, v[6:7] offset:6528
	ds_write2_b64 v43, v[4:5], v[12:13] offset1:68
	ds_write2_b64 v43, v[22:23], v[8:9] offset0:136 offset1:204
	ds_write2_b64 v2, v[16:17], v[31:32] offset0:16 offset1:84
	;; [unrolled: 1-line block ×5, first 2 shown]
	s_waitcnt lgkmcnt(0)
	s_barrier
	s_and_saveexec_b64 s[2:3], s[0:1]
	s_cbranch_execz .LBB0_32
; %bb.31:
	v_mul_lo_u32 v0, s5, v26
	v_mul_lo_u32 v1, s4, v27
	v_mad_u64_u32 v[4:5], s[0:1], s4, v26, 0
	v_mov_b32_e32 v7, s11
	v_lshl_add_u32 v6, v28, 3, v40
	v_add3_u32 v5, v5, v1, v0
	v_lshlrev_b64 v[4:5], 3, v[4:5]
	v_mov_b32_e32 v29, 0
	v_add_co_u32_e32 v8, vcc, s10, v4
	v_addc_co_u32_e32 v7, vcc, v7, v5, vcc
	v_lshlrev_b64 v[4:5], 3, v[24:25]
	ds_read2_b64 v[0:3], v6 offset1:68
	v_add_co_u32_e32 v8, vcc, v8, v4
	v_addc_co_u32_e32 v7, vcc, v7, v5, vcc
	v_lshlrev_b64 v[4:5], 3, v[28:29]
	v_add_u32_e32 v9, 0x800, v6
	v_add_co_u32_e32 v4, vcc, v8, v4
	v_addc_co_u32_e32 v5, vcc, v7, v5, vcc
	s_waitcnt lgkmcnt(0)
	global_store_dwordx2 v[4:5], v[0:1], off
	v_add_u32_e32 v0, 0x44, v28
	v_mov_b32_e32 v1, v29
	v_lshlrev_b64 v[0:1], 3, v[0:1]
	v_add_u32_e32 v4, 0x88, v28
	v_add_co_u32_e32 v0, vcc, v8, v0
	v_addc_co_u32_e32 v1, vcc, v7, v1, vcc
	global_store_dwordx2 v[0:1], v[2:3], off
	v_mov_b32_e32 v5, v29
	ds_read2_b64 v[0:3], v6 offset0:136 offset1:204
	v_lshlrev_b64 v[4:5], 3, v[4:5]
	v_add_co_u32_e32 v4, vcc, v8, v4
	v_addc_co_u32_e32 v5, vcc, v7, v5, vcc
	s_waitcnt lgkmcnt(0)
	global_store_dwordx2 v[4:5], v[0:1], off
	v_add_u32_e32 v0, 0xcc, v28
	v_mov_b32_e32 v1, v29
	v_lshlrev_b64 v[0:1], 3, v[0:1]
	v_add_u32_e32 v4, 0x110, v28
	v_add_co_u32_e32 v0, vcc, v8, v0
	v_addc_co_u32_e32 v1, vcc, v7, v1, vcc
	global_store_dwordx2 v[0:1], v[2:3], off
	v_mov_b32_e32 v5, v29
	ds_read2_b64 v[0:3], v9 offset0:16 offset1:84
	v_lshlrev_b64 v[4:5], 3, v[4:5]
	;; [unrolled: 14-line block ×3, first 2 shown]
	v_add_u32_e32 v9, 0x1000, v6
	v_add_co_u32_e32 v4, vcc, v8, v4
	v_addc_co_u32_e32 v5, vcc, v7, v5, vcc
	s_waitcnt lgkmcnt(0)
	global_store_dwordx2 v[4:5], v[0:1], off
	v_add_u32_e32 v0, 0x1dc, v28
	v_mov_b32_e32 v1, v29
	v_lshlrev_b64 v[0:1], 3, v[0:1]
	v_add_u32_e32 v4, 0x220, v28
	v_add_co_u32_e32 v0, vcc, v8, v0
	v_addc_co_u32_e32 v1, vcc, v7, v1, vcc
	global_store_dwordx2 v[0:1], v[2:3], off
	v_mov_b32_e32 v5, v29
	ds_read2_b64 v[0:3], v9 offset0:32 offset1:100
	v_lshlrev_b64 v[4:5], 3, v[4:5]
	v_add_co_u32_e32 v4, vcc, v8, v4
	v_addc_co_u32_e32 v5, vcc, v7, v5, vcc
	s_waitcnt lgkmcnt(0)
	global_store_dwordx2 v[4:5], v[0:1], off
	v_add_u32_e32 v0, 0x264, v28
	v_mov_b32_e32 v1, v29
	v_lshlrev_b64 v[0:1], 3, v[0:1]
	v_add_u32_e32 v4, 0x2a8, v28
	v_add_co_u32_e32 v0, vcc, v8, v0
	v_addc_co_u32_e32 v1, vcc, v7, v1, vcc
	global_store_dwordx2 v[0:1], v[2:3], off
	v_mov_b32_e32 v5, v29
	ds_read2_b64 v[0:3], v9 offset0:168 offset1:236
	v_lshlrev_b64 v[4:5], 3, v[4:5]
	v_add_co_u32_e32 v4, vcc, v8, v4
	v_addc_co_u32_e32 v5, vcc, v7, v5, vcc
	s_waitcnt lgkmcnt(0)
	global_store_dwordx2 v[4:5], v[0:1], off
	v_add_u32_e32 v0, 0x2ec, v28
	v_mov_b32_e32 v1, v29
	v_lshlrev_b64 v[0:1], 3, v[0:1]
	v_add_u32_e32 v4, 0x330, v28
	v_add_co_u32_e32 v0, vcc, v8, v0
	v_addc_co_u32_e32 v1, vcc, v7, v1, vcc
	global_store_dwordx2 v[0:1], v[2:3], off
	v_add_u32_e32 v0, 0x1800, v6
	v_mov_b32_e32 v5, v29
	ds_read2_b64 v[0:3], v0 offset0:48 offset1:116
	v_lshlrev_b64 v[4:5], 3, v[4:5]
	v_add_co_u32_e32 v4, vcc, v8, v4
	v_addc_co_u32_e32 v5, vcc, v7, v5, vcc
	s_waitcnt lgkmcnt(0)
	global_store_dwordx2 v[4:5], v[0:1], off
	v_add_u32_e32 v0, 0x374, v28
	v_mov_b32_e32 v1, v29
	v_lshlrev_b64 v[0:1], 3, v[0:1]
	v_add_u32_e32 v28, 0x3b8, v28
	v_add_co_u32_e32 v0, vcc, v8, v0
	v_addc_co_u32_e32 v1, vcc, v7, v1, vcc
	global_store_dwordx2 v[0:1], v[2:3], off
	ds_read_b64 v[0:1], v6 offset:7616
	v_lshlrev_b64 v[2:3], 3, v[28:29]
	v_add_co_u32_e32 v2, vcc, v8, v2
	v_addc_co_u32_e32 v3, vcc, v7, v3, vcc
	s_waitcnt lgkmcnt(0)
	global_store_dwordx2 v[2:3], v[0:1], off
.LBB0_32:
	s_endpgm
	.section	.rodata,"a",@progbits
	.p2align	6, 0x0
	.amdhsa_kernel fft_rtc_fwd_len1020_factors_2_17_2_3_5_wgs_204_tpt_68_halfLds_sp_op_CI_CI_unitstride_sbrr_C2R_dirReg
		.amdhsa_group_segment_fixed_size 0
		.amdhsa_private_segment_fixed_size 0
		.amdhsa_kernarg_size 104
		.amdhsa_user_sgpr_count 6
		.amdhsa_user_sgpr_private_segment_buffer 1
		.amdhsa_user_sgpr_dispatch_ptr 0
		.amdhsa_user_sgpr_queue_ptr 0
		.amdhsa_user_sgpr_kernarg_segment_ptr 1
		.amdhsa_user_sgpr_dispatch_id 0
		.amdhsa_user_sgpr_flat_scratch_init 0
		.amdhsa_user_sgpr_private_segment_size 0
		.amdhsa_uses_dynamic_stack 0
		.amdhsa_system_sgpr_private_segment_wavefront_offset 0
		.amdhsa_system_sgpr_workgroup_id_x 1
		.amdhsa_system_sgpr_workgroup_id_y 0
		.amdhsa_system_sgpr_workgroup_id_z 0
		.amdhsa_system_sgpr_workgroup_info 0
		.amdhsa_system_vgpr_workitem_id 0
		.amdhsa_next_free_vgpr 182
		.amdhsa_next_free_sgpr 28
		.amdhsa_reserve_vcc 1
		.amdhsa_reserve_flat_scratch 0
		.amdhsa_float_round_mode_32 0
		.amdhsa_float_round_mode_16_64 0
		.amdhsa_float_denorm_mode_32 3
		.amdhsa_float_denorm_mode_16_64 3
		.amdhsa_dx10_clamp 1
		.amdhsa_ieee_mode 1
		.amdhsa_fp16_overflow 0
		.amdhsa_exception_fp_ieee_invalid_op 0
		.amdhsa_exception_fp_denorm_src 0
		.amdhsa_exception_fp_ieee_div_zero 0
		.amdhsa_exception_fp_ieee_overflow 0
		.amdhsa_exception_fp_ieee_underflow 0
		.amdhsa_exception_fp_ieee_inexact 0
		.amdhsa_exception_int_div_zero 0
	.end_amdhsa_kernel
	.text
.Lfunc_end0:
	.size	fft_rtc_fwd_len1020_factors_2_17_2_3_5_wgs_204_tpt_68_halfLds_sp_op_CI_CI_unitstride_sbrr_C2R_dirReg, .Lfunc_end0-fft_rtc_fwd_len1020_factors_2_17_2_3_5_wgs_204_tpt_68_halfLds_sp_op_CI_CI_unitstride_sbrr_C2R_dirReg
                                        ; -- End function
	.section	.AMDGPU.csdata,"",@progbits
; Kernel info:
; codeLenInByte = 13344
; NumSgprs: 32
; NumVgprs: 182
; ScratchSize: 0
; MemoryBound: 0
; FloatMode: 240
; IeeeMode: 1
; LDSByteSize: 0 bytes/workgroup (compile time only)
; SGPRBlocks: 3
; VGPRBlocks: 45
; NumSGPRsForWavesPerEU: 32
; NumVGPRsForWavesPerEU: 182
; Occupancy: 1
; WaveLimiterHint : 1
; COMPUTE_PGM_RSRC2:SCRATCH_EN: 0
; COMPUTE_PGM_RSRC2:USER_SGPR: 6
; COMPUTE_PGM_RSRC2:TRAP_HANDLER: 0
; COMPUTE_PGM_RSRC2:TGID_X_EN: 1
; COMPUTE_PGM_RSRC2:TGID_Y_EN: 0
; COMPUTE_PGM_RSRC2:TGID_Z_EN: 0
; COMPUTE_PGM_RSRC2:TIDIG_COMP_CNT: 0
	.type	__hip_cuid_c1f384807bebbf46,@object ; @__hip_cuid_c1f384807bebbf46
	.section	.bss,"aw",@nobits
	.globl	__hip_cuid_c1f384807bebbf46
__hip_cuid_c1f384807bebbf46:
	.byte	0                               ; 0x0
	.size	__hip_cuid_c1f384807bebbf46, 1

	.ident	"AMD clang version 19.0.0git (https://github.com/RadeonOpenCompute/llvm-project roc-6.4.0 25133 c7fe45cf4b819c5991fe208aaa96edf142730f1d)"
	.section	".note.GNU-stack","",@progbits
	.addrsig
	.addrsig_sym __hip_cuid_c1f384807bebbf46
	.amdgpu_metadata
---
amdhsa.kernels:
  - .args:
      - .actual_access:  read_only
        .address_space:  global
        .offset:         0
        .size:           8
        .value_kind:     global_buffer
      - .offset:         8
        .size:           8
        .value_kind:     by_value
      - .actual_access:  read_only
        .address_space:  global
        .offset:         16
        .size:           8
        .value_kind:     global_buffer
      - .actual_access:  read_only
        .address_space:  global
        .offset:         24
        .size:           8
        .value_kind:     global_buffer
      - .actual_access:  read_only
        .address_space:  global
        .offset:         32
        .size:           8
        .value_kind:     global_buffer
      - .offset:         40
        .size:           8
        .value_kind:     by_value
      - .actual_access:  read_only
        .address_space:  global
        .offset:         48
        .size:           8
        .value_kind:     global_buffer
      - .actual_access:  read_only
        .address_space:  global
        .offset:         56
        .size:           8
        .value_kind:     global_buffer
      - .offset:         64
        .size:           4
        .value_kind:     by_value
      - .actual_access:  read_only
        .address_space:  global
        .offset:         72
        .size:           8
        .value_kind:     global_buffer
      - .actual_access:  read_only
        .address_space:  global
        .offset:         80
        .size:           8
        .value_kind:     global_buffer
      - .actual_access:  read_only
        .address_space:  global
        .offset:         88
        .size:           8
        .value_kind:     global_buffer
      - .actual_access:  write_only
        .address_space:  global
        .offset:         96
        .size:           8
        .value_kind:     global_buffer
    .group_segment_fixed_size: 0
    .kernarg_segment_align: 8
    .kernarg_segment_size: 104
    .language:       OpenCL C
    .language_version:
      - 2
      - 0
    .max_flat_workgroup_size: 204
    .name:           fft_rtc_fwd_len1020_factors_2_17_2_3_5_wgs_204_tpt_68_halfLds_sp_op_CI_CI_unitstride_sbrr_C2R_dirReg
    .private_segment_fixed_size: 0
    .sgpr_count:     32
    .sgpr_spill_count: 0
    .symbol:         fft_rtc_fwd_len1020_factors_2_17_2_3_5_wgs_204_tpt_68_halfLds_sp_op_CI_CI_unitstride_sbrr_C2R_dirReg.kd
    .uniform_work_group_size: 1
    .uses_dynamic_stack: false
    .vgpr_count:     182
    .vgpr_spill_count: 0
    .wavefront_size: 64
amdhsa.target:   amdgcn-amd-amdhsa--gfx906
amdhsa.version:
  - 1
  - 2
...

	.end_amdgpu_metadata
